;; amdgpu-corpus repo=ROCm/rocFFT kind=compiled arch=gfx1030 opt=O3
	.text
	.amdgcn_target "amdgcn-amd-amdhsa--gfx1030"
	.amdhsa_code_object_version 6
	.protected	bluestein_single_back_len2401_dim1_dp_op_CI_CI ; -- Begin function bluestein_single_back_len2401_dim1_dp_op_CI_CI
	.globl	bluestein_single_back_len2401_dim1_dp_op_CI_CI
	.p2align	8
	.type	bluestein_single_back_len2401_dim1_dp_op_CI_CI,@function
bluestein_single_back_len2401_dim1_dp_op_CI_CI: ; @bluestein_single_back_len2401_dim1_dp_op_CI_CI
; %bb.0:
	s_load_dwordx4 s[12:15], s[4:5], 0x28
	v_mul_u32_u24_e32 v1, 0x53a, v0
	s_mov_b64 s[38:39], s[2:3]
	s_mov_b64 s[36:37], s[0:1]
	v_mov_b32_e32 v2, 0
	s_add_u32 s36, s36, s7
	v_lshrrev_b32_e32 v3, 16, v1
	s_addc_u32 s37, s37, 0
	s_mov_b32 s0, exec_lo
	v_add_nc_u32_e32 v1, s6, v3
	s_waitcnt lgkmcnt(0)
	v_cmpx_gt_u64_e64 s[12:13], v[1:2]
	s_cbranch_execz .LBB0_2
; %bb.1:
	s_clause 0x2
	s_load_dwordx4 s[8:11], s[4:5], 0x0
	s_load_dwordx4 s[0:3], s[4:5], 0x18
	s_load_dwordx2 s[12:13], s[4:5], 0x38
	v_mul_lo_u16 v2, v3, 49
	s_mov_b32 s26, 0x37e14327
	s_mov_b32 s27, 0x3fe948f6
	;; [unrolled: 1-line block ×4, first 2 shown]
	v_sub_nc_u16 v202, v0, v2
	s_mov_b32 s20, 0xaaaaaaaa
	s_mov_b32 s21, 0xbff2aaaa
	;; [unrolled: 1-line block ×4, first 2 shown]
	v_and_b32_e32 v6, 0xffff, v202
	s_mov_b32 s19, 0xbfd5d0dc
	s_waitcnt lgkmcnt(0)
	s_load_dwordx4 s[4:7], s[0:1], 0x0
	s_load_dwordx4 s[0:3], s[2:3], 0x0
	v_mov_b32_e32 v30, v6
	v_lshlrev_b32_e32 v196, 4, v30
	v_add_co_u32 v203, null, v30, 49
	v_add_co_u32 v218, null, 0x62, v30
	;; [unrolled: 1-line block ×6, first 2 shown]
	s_waitcnt lgkmcnt(0)
	v_mad_u64_u32 v[4:5], null, s2, v1, 0
	v_add_co_u32 v197, s2, s8, v196
	v_add_co_ci_u32_e64 v204, null, s9, 0, s2
	s_mul_i32 s2, s5, 0x1570
	v_mov_b32_e32 v0, v5
	v_mad_u64_u32 v[2:3], null, s3, v1, v[0:1]
	s_mul_hi_u32 s3, s4, 0x1570
	s_add_i32 s2, s3, s2
	s_mul_i32 s3, s4, 0x1570
	v_mov_b32_e32 v5, v2
	v_mad_u64_u32 v[2:3], null, s6, v1, 0
	s_mul_hi_u32 s6, s4, 0xffff8270
	buffer_store_dword v4, off, s[36:39], 0 offset:20 ; 4-byte Folded Spill
	buffer_store_dword v5, off, s[36:39], 0 offset:24 ; 4-byte Folded Spill
	global_load_dwordx4 v[10:13], v196, s[8:9]
	s_sub_i32 s6, s6, s4
	v_mov_b32_e32 v0, v3
	v_mad_u64_u32 v[0:1], null, s7, v1, v[0:1]
	v_mov_b32_e32 v3, v0
	v_mad_u64_u32 v[0:1], null, s4, v6, 0
	s_mulk_i32 s4, 0x8270
	v_mad_u64_u32 v[4:5], null, s5, v6, v[1:2]
	v_lshlrev_b64 v[2:3], 4, v[2:3]
	s_mulk_i32 s5, 0x8270
	s_add_i32 s5, s6, s5
	s_mov_b32 s6, 0x36b3c0b5
	s_mov_b32 s7, 0x3fac98ee
	v_mov_b32_e32 v1, v4
	v_add_co_u32 v2, vcc_lo, s14, v2
	v_add_co_ci_u32_e32 v3, vcc_lo, s15, v3, vcc_lo
	v_lshlrev_b64 v[0:1], 4, v[0:1]
	s_mov_b32 s14, 0x5476071b
	s_mov_b32 s15, 0x3fe77f67
	s_mov_b32 s16, s14
	v_add_co_u32 v8, vcc_lo, v2, v0
	v_add_co_ci_u32_e32 v9, vcc_lo, v3, v1, vcc_lo
	global_load_dwordx4 v[0:3], v[8:9], off
	s_waitcnt vmcnt(1)
	buffer_store_dword v10, off, s[36:39], 0 offset:124 ; 4-byte Folded Spill
	buffer_store_dword v11, off, s[36:39], 0 offset:128 ; 4-byte Folded Spill
	;; [unrolled: 1-line block ×4, first 2 shown]
	s_waitcnt vmcnt(0)
	v_mul_f64 v[4:5], v[2:3], v[12:13]
	v_fma_f64 v[4:5], v[0:1], v[10:11], v[4:5]
	v_mul_f64 v[0:1], v[0:1], v[12:13]
	v_fma_f64 v[6:7], v[2:3], v[10:11], -v[0:1]
	v_add_co_u32 v10, vcc_lo, v8, s3
	v_add_co_ci_u32_e32 v11, vcc_lo, s2, v9, vcc_lo
	v_add_co_u32 v8, vcc_lo, 0x1000, v197
	v_add_co_ci_u32_e32 v9, vcc_lo, 0, v204, vcc_lo
	global_load_dwordx4 v[0:3], v[10:11], off
	v_add_co_u32 v10, vcc_lo, v10, s3
	global_load_dwordx4 v[12:15], v[8:9], off offset:1392
	v_add_co_ci_u32_e32 v11, vcc_lo, s2, v11, vcc_lo
	ds_write_b128 v196, v[4:7]
	s_waitcnt vmcnt(0)
	buffer_store_dword v12, off, s[36:39], 0 offset:76 ; 4-byte Folded Spill
	buffer_store_dword v13, off, s[36:39], 0 offset:80 ; 4-byte Folded Spill
	;; [unrolled: 1-line block ×4, first 2 shown]
	v_mul_f64 v[4:5], v[2:3], v[14:15]
	v_fma_f64 v[4:5], v[0:1], v[12:13], v[4:5]
	v_mul_f64 v[0:1], v[0:1], v[14:15]
	v_fma_f64 v[6:7], v[2:3], v[12:13], -v[0:1]
	v_add_co_u32 v12, vcc_lo, 0x2800, v197
	v_add_co_ci_u32_e32 v13, vcc_lo, 0, v204, vcc_lo
	global_load_dwordx4 v[0:3], v[10:11], off
	global_load_dwordx4 v[14:17], v[12:13], off offset:736
	ds_write_b128 v196, v[4:7] offset:5488
	s_waitcnt vmcnt(0)
	buffer_store_dword v14, off, s[36:39], 0 offset:28 ; 4-byte Folded Spill
	buffer_store_dword v15, off, s[36:39], 0 offset:32 ; 4-byte Folded Spill
	;; [unrolled: 1-line block ×4, first 2 shown]
	v_mul_f64 v[4:5], v[2:3], v[16:17]
	v_fma_f64 v[4:5], v[0:1], v[14:15], v[4:5]
	v_mul_f64 v[0:1], v[0:1], v[16:17]
	v_fma_f64 v[6:7], v[2:3], v[14:15], -v[0:1]
	v_add_co_u32 v0, vcc_lo, v10, s3
	v_add_co_ci_u32_e32 v1, vcc_lo, s2, v11, vcc_lo
	v_add_co_u32 v2, vcc_lo, 0x4000, v197
	v_add_co_ci_u32_e32 v3, vcc_lo, 0, v204, vcc_lo
	global_load_dwordx4 v[16:19], v[2:3], off offset:80
	ds_write_b128 v196, v[4:7] offset:10976
	global_load_dwordx4 v[4:7], v[0:1], off
	v_add_co_u32 v0, vcc_lo, v0, s3
	v_add_co_ci_u32_e32 v1, vcc_lo, s2, v1, vcc_lo
	s_waitcnt vmcnt(1)
	buffer_store_dword v16, off, s[36:39], 0 offset:44 ; 4-byte Folded Spill
	buffer_store_dword v17, off, s[36:39], 0 offset:48 ; 4-byte Folded Spill
	;; [unrolled: 1-line block ×4, first 2 shown]
	s_waitcnt vmcnt(0)
	v_mul_f64 v[10:11], v[6:7], v[18:19]
	v_fma_f64 v[14:15], v[4:5], v[16:17], v[10:11]
	v_mul_f64 v[4:5], v[4:5], v[18:19]
	v_fma_f64 v[16:17], v[6:7], v[16:17], -v[4:5]
	v_add_co_u32 v6, vcc_lo, 0x5000, v197
	v_add_co_ci_u32_e32 v7, vcc_lo, 0, v204, vcc_lo
	global_load_dwordx4 v[20:23], v[6:7], off offset:1472
	ds_write_b128 v196, v[14:17] offset:16464
	global_load_dwordx4 v[14:17], v[0:1], off
	v_add_co_u32 v0, vcc_lo, v0, s3
	v_add_co_ci_u32_e32 v1, vcc_lo, s2, v1, vcc_lo
	s_waitcnt vmcnt(1)
	buffer_store_dword v20, off, s[36:39], 0 offset:60 ; 4-byte Folded Spill
	buffer_store_dword v21, off, s[36:39], 0 offset:64 ; 4-byte Folded Spill
	;; [unrolled: 1-line block ×4, first 2 shown]
	s_waitcnt vmcnt(0)
	v_mul_f64 v[4:5], v[16:17], v[22:23]
	v_fma_f64 v[18:19], v[14:15], v[20:21], v[4:5]
	v_mul_f64 v[4:5], v[14:15], v[22:23]
	v_fma_f64 v[20:21], v[16:17], v[20:21], -v[4:5]
	v_add_co_u32 v4, vcc_lo, 0x6800, v197
	v_add_co_ci_u32_e32 v5, vcc_lo, 0, v204, vcc_lo
	global_load_dwordx4 v[14:17], v[0:1], off
	ds_write_b128 v196, v[18:21] offset:21952
	global_load_dwordx4 v[20:23], v[4:5], off offset:816
	s_waitcnt vmcnt(0)
	buffer_store_dword v20, off, s[36:39], 0 offset:92 ; 4-byte Folded Spill
	buffer_store_dword v21, off, s[36:39], 0 offset:96 ; 4-byte Folded Spill
	;; [unrolled: 1-line block ×4, first 2 shown]
	v_mul_f64 v[10:11], v[16:17], v[22:23]
	v_fma_f64 v[18:19], v[14:15], v[20:21], v[10:11]
	v_mul_f64 v[10:11], v[14:15], v[22:23]
	v_fma_f64 v[20:21], v[16:17], v[20:21], -v[10:11]
	v_add_co_u32 v10, vcc_lo, v0, s3
	v_add_co_ci_u32_e32 v11, vcc_lo, s2, v1, vcc_lo
	v_add_co_u32 v0, vcc_lo, 0x8000, v197
	v_add_co_ci_u32_e32 v1, vcc_lo, 0, v204, vcc_lo
	global_load_dwordx4 v[14:17], v[10:11], off
	v_add_co_u32 v10, vcc_lo, v10, s4
	v_add_co_ci_u32_e32 v11, vcc_lo, s5, v11, vcc_lo
	ds_write_b128 v196, v[18:21] offset:27440
	global_load_dwordx4 v[20:23], v[0:1], off offset:160
	s_waitcnt vmcnt(0)
	buffer_store_dword v20, off, s[36:39], 0 offset:108 ; 4-byte Folded Spill
	buffer_store_dword v21, off, s[36:39], 0 offset:112 ; 4-byte Folded Spill
	;; [unrolled: 1-line block ×4, first 2 shown]
	v_mul_f64 v[18:19], v[16:17], v[22:23]
	v_fma_f64 v[18:19], v[14:15], v[20:21], v[18:19]
	v_mul_f64 v[14:15], v[14:15], v[22:23]
	v_fma_f64 v[20:21], v[16:17], v[20:21], -v[14:15]
	ds_write_b128 v196, v[18:21] offset:32928
	global_load_dwordx4 v[14:17], v[10:11], off
	global_load_dwordx4 v[20:23], v196, s[8:9] offset:784
	s_waitcnt vmcnt(0)
	buffer_store_dword v20, off, s[36:39], 0 offset:140 ; 4-byte Folded Spill
	buffer_store_dword v21, off, s[36:39], 0 offset:144 ; 4-byte Folded Spill
	;; [unrolled: 1-line block ×4, first 2 shown]
	v_mul_f64 v[18:19], v[16:17], v[22:23]
	v_fma_f64 v[18:19], v[14:15], v[20:21], v[18:19]
	v_mul_f64 v[14:15], v[14:15], v[22:23]
	v_add_co_u32 v22, vcc_lo, v10, s3
	v_add_co_ci_u32_e32 v23, vcc_lo, s2, v11, vcc_lo
	v_add_co_u32 v10, vcc_lo, 0x1800, v197
	v_add_co_ci_u32_e32 v11, vcc_lo, 0, v204, vcc_lo
	global_load_dwordx4 v[24:27], v[10:11], off offset:128
	v_fma_f64 v[20:21], v[16:17], v[20:21], -v[14:15]
	global_load_dwordx4 v[14:17], v[22:23], off
	ds_write_b128 v196, v[18:21] offset:784
	s_waitcnt vmcnt(1)
	buffer_store_dword v24, off, s[36:39], 0 offset:156 ; 4-byte Folded Spill
	buffer_store_dword v25, off, s[36:39], 0 offset:160 ; 4-byte Folded Spill
	;; [unrolled: 1-line block ×4, first 2 shown]
	s_waitcnt vmcnt(0)
	v_mul_f64 v[18:19], v[16:17], v[26:27]
	v_fma_f64 v[18:19], v[14:15], v[24:25], v[18:19]
	v_mul_f64 v[14:15], v[14:15], v[26:27]
	v_fma_f64 v[20:21], v[16:17], v[24:25], -v[14:15]
	ds_write_b128 v196, v[18:21] offset:6272
	v_add_co_u32 v18, vcc_lo, v22, s3
	v_add_co_ci_u32_e32 v19, vcc_lo, s2, v23, vcc_lo
	global_load_dwordx4 v[14:17], v[18:19], off
	global_load_dwordx4 v[20:23], v[12:13], off offset:1520
	s_waitcnt vmcnt(0)
	buffer_store_dword v20, off, s[36:39], 0 offset:172 ; 4-byte Folded Spill
	buffer_store_dword v21, off, s[36:39], 0 offset:176 ; 4-byte Folded Spill
	;; [unrolled: 1-line block ×4, first 2 shown]
	v_mul_f64 v[12:13], v[16:17], v[22:23]
	v_fma_f64 v[12:13], v[14:15], v[20:21], v[12:13]
	v_mul_f64 v[14:15], v[14:15], v[22:23]
	v_fma_f64 v[14:15], v[16:17], v[20:21], -v[14:15]
	v_add_co_u32 v20, vcc_lo, v18, s3
	v_add_co_ci_u32_e32 v21, vcc_lo, s2, v19, vcc_lo
	ds_write_b128 v196, v[12:15] offset:11760
	global_load_dwordx4 v[12:15], v[20:21], off
	global_load_dwordx4 v[22:25], v[2:3], off offset:864
	s_waitcnt vmcnt(0)
	buffer_store_dword v22, off, s[36:39], 0 offset:188 ; 4-byte Folded Spill
	buffer_store_dword v23, off, s[36:39], 0 offset:192 ; 4-byte Folded Spill
	;; [unrolled: 1-line block ×4, first 2 shown]
	v_mul_f64 v[16:17], v[14:15], v[24:25]
	v_fma_f64 v[16:17], v[12:13], v[22:23], v[16:17]
	v_mul_f64 v[12:13], v[12:13], v[24:25]
	v_fma_f64 v[18:19], v[14:15], v[22:23], -v[12:13]
	v_add_co_u32 v22, vcc_lo, v20, s3
	v_add_co_ci_u32_e32 v23, vcc_lo, s2, v21, vcc_lo
	v_add_co_u32 v12, vcc_lo, 0x5800, v197
	v_add_co_ci_u32_e32 v13, vcc_lo, 0, v204, vcc_lo
	global_load_dwordx4 v[24:27], v[12:13], off offset:208
	ds_write_b128 v196, v[16:19] offset:17248
	global_load_dwordx4 v[14:17], v[22:23], off
	v_add_co_u32 v22, vcc_lo, v22, s3
	v_add_co_ci_u32_e32 v23, vcc_lo, s2, v23, vcc_lo
	s_waitcnt vmcnt(1)
	buffer_store_dword v24, off, s[36:39], 0 offset:204 ; 4-byte Folded Spill
	buffer_store_dword v25, off, s[36:39], 0 offset:208 ; 4-byte Folded Spill
	;; [unrolled: 1-line block ×4, first 2 shown]
	s_waitcnt vmcnt(0)
	v_mul_f64 v[18:19], v[16:17], v[26:27]
	v_fma_f64 v[18:19], v[14:15], v[24:25], v[18:19]
	v_mul_f64 v[14:15], v[14:15], v[26:27]
	v_fma_f64 v[20:21], v[16:17], v[24:25], -v[14:15]
	ds_write_b128 v196, v[18:21] offset:22736
	global_load_dwordx4 v[14:17], v[22:23], off
	global_load_dwordx4 v[24:27], v[4:5], off offset:1600
	v_add_co_u32 v22, vcc_lo, v22, s3
	v_add_co_ci_u32_e32 v23, vcc_lo, s2, v23, vcc_lo
	s_waitcnt vmcnt(0)
	buffer_store_dword v24, off, s[36:39], 0 offset:220 ; 4-byte Folded Spill
	buffer_store_dword v25, off, s[36:39], 0 offset:224 ; 4-byte Folded Spill
	;; [unrolled: 1-line block ×4, first 2 shown]
	v_mul_f64 v[18:19], v[16:17], v[26:27]
	v_fma_f64 v[18:19], v[14:15], v[24:25], v[18:19]
	v_mul_f64 v[14:15], v[14:15], v[26:27]
	v_fma_f64 v[20:21], v[16:17], v[24:25], -v[14:15]
	ds_write_b128 v196, v[18:21] offset:28224
	global_load_dwordx4 v[14:17], v[22:23], off
	global_load_dwordx4 v[24:27], v[0:1], off offset:944
	v_add_co_u32 v22, vcc_lo, v22, s4
	v_add_co_ci_u32_e32 v23, vcc_lo, s5, v23, vcc_lo
	s_waitcnt vmcnt(0)
	buffer_store_dword v24, off, s[36:39], 0 offset:236 ; 4-byte Folded Spill
	buffer_store_dword v25, off, s[36:39], 0 offset:240 ; 4-byte Folded Spill
	;; [unrolled: 1-line block ×4, first 2 shown]
	v_mul_f64 v[18:19], v[16:17], v[26:27]
	v_fma_f64 v[18:19], v[14:15], v[24:25], v[18:19]
	v_mul_f64 v[14:15], v[14:15], v[26:27]
	v_fma_f64 v[20:21], v[16:17], v[24:25], -v[14:15]
	ds_write_b128 v196, v[18:21] offset:33712
	global_load_dwordx4 v[14:17], v[22:23], off
	global_load_dwordx4 v[24:27], v196, s[8:9] offset:1568
	v_add_co_u32 v22, vcc_lo, v22, s3
	v_add_co_ci_u32_e32 v23, vcc_lo, s2, v23, vcc_lo
	s_mov_b32 s8, 0xb247c609
	s_mov_b32 s9, 0x3fd5d0dc
	;; [unrolled: 1-line block ×3, first 2 shown]
	s_waitcnt vmcnt(0)
	buffer_store_dword v24, off, s[36:39], 0 offset:252 ; 4-byte Folded Spill
	buffer_store_dword v25, off, s[36:39], 0 offset:256 ; 4-byte Folded Spill
	;; [unrolled: 1-line block ×4, first 2 shown]
	v_mul_f64 v[18:19], v[16:17], v[26:27]
	v_fma_f64 v[18:19], v[14:15], v[24:25], v[18:19]
	v_mul_f64 v[14:15], v[14:15], v[26:27]
	v_fma_f64 v[20:21], v[16:17], v[24:25], -v[14:15]
	ds_write_b128 v196, v[18:21] offset:1568
	global_load_dwordx4 v[14:17], v[22:23], off
	global_load_dwordx4 v[24:27], v[10:11], off offset:912
	v_add_co_u32 v22, vcc_lo, v22, s3
	v_add_co_ci_u32_e32 v23, vcc_lo, s2, v23, vcc_lo
	s_waitcnt vmcnt(0)
	buffer_store_dword v24, off, s[36:39], 0 offset:268 ; 4-byte Folded Spill
	buffer_store_dword v25, off, s[36:39], 0 offset:272 ; 4-byte Folded Spill
	;; [unrolled: 1-line block ×4, first 2 shown]
	v_mul_f64 v[18:19], v[16:17], v[26:27]
	v_fma_f64 v[18:19], v[14:15], v[24:25], v[18:19]
	v_mul_f64 v[14:15], v[14:15], v[26:27]
	v_fma_f64 v[20:21], v[16:17], v[24:25], -v[14:15]
	v_add_co_u32 v24, vcc_lo, 0x3000, v197
	v_add_co_ci_u32_e32 v25, vcc_lo, 0, v204, vcc_lo
	global_load_dwordx4 v[14:17], v[22:23], off
	v_add_co_u32 v22, vcc_lo, v22, s3
	global_load_dwordx4 v[26:29], v[24:25], off offset:256
	v_add_co_ci_u32_e32 v23, vcc_lo, s2, v23, vcc_lo
	ds_write_b128 v196, v[18:21] offset:7056
	s_waitcnt vmcnt(0)
	buffer_store_dword v26, off, s[36:39], 0 offset:284 ; 4-byte Folded Spill
	buffer_store_dword v27, off, s[36:39], 0 offset:288 ; 4-byte Folded Spill
	;; [unrolled: 1-line block ×4, first 2 shown]
	v_mul_f64 v[18:19], v[16:17], v[28:29]
	v_fma_f64 v[18:19], v[14:15], v[26:27], v[18:19]
	v_mul_f64 v[14:15], v[14:15], v[28:29]
	v_fma_f64 v[20:21], v[16:17], v[26:27], -v[14:15]
	ds_write_b128 v196, v[18:21] offset:12544
	global_load_dwordx4 v[14:17], v[22:23], off
	global_load_dwordx4 v[26:29], v[2:3], off offset:1648
	s_waitcnt vmcnt(0)
	buffer_store_dword v26, off, s[36:39], 0 offset:300 ; 4-byte Folded Spill
	buffer_store_dword v27, off, s[36:39], 0 offset:304 ; 4-byte Folded Spill
	;; [unrolled: 1-line block ×4, first 2 shown]
	v_mul_f64 v[2:3], v[16:17], v[28:29]
	v_fma_f64 v[18:19], v[14:15], v[26:27], v[2:3]
	v_mul_f64 v[2:3], v[14:15], v[28:29]
	v_fma_f64 v[20:21], v[16:17], v[26:27], -v[2:3]
	v_add_co_u32 v2, vcc_lo, v22, s3
	v_add_co_ci_u32_e32 v3, vcc_lo, s2, v23, vcc_lo
	ds_write_b128 v196, v[18:21] offset:18032
	global_load_dwordx4 v[14:17], v[2:3], off
	global_load_dwordx4 v[20:23], v[12:13], off offset:992
	v_add_co_u32 v2, vcc_lo, v2, s3
	v_add_co_ci_u32_e32 v3, vcc_lo, s2, v3, vcc_lo
	s_waitcnt vmcnt(0)
	buffer_store_dword v20, off, s[36:39], 0 offset:316 ; 4-byte Folded Spill
	buffer_store_dword v21, off, s[36:39], 0 offset:320 ; 4-byte Folded Spill
	;; [unrolled: 1-line block ×4, first 2 shown]
	v_mul_f64 v[18:19], v[16:17], v[22:23]
	v_fma_f64 v[18:19], v[14:15], v[20:21], v[18:19]
	v_mul_f64 v[14:15], v[14:15], v[22:23]
	v_add_co_u32 v22, vcc_lo, 0x7000, v197
	v_add_co_ci_u32_e32 v23, vcc_lo, 0, v204, vcc_lo
	global_load_dwordx4 v[26:29], v[22:23], off offset:336
	v_fma_f64 v[20:21], v[16:17], v[20:21], -v[14:15]
	global_load_dwordx4 v[14:17], v[2:3], off
	ds_write_b128 v196, v[18:21] offset:23520
	s_waitcnt vmcnt(1)
	buffer_store_dword v26, off, s[36:39], 0 offset:348 ; 4-byte Folded Spill
	buffer_store_dword v27, off, s[36:39], 0 offset:352 ; 4-byte Folded Spill
	;; [unrolled: 1-line block ×4, first 2 shown]
	s_waitcnt vmcnt(0)
	v_mul_f64 v[18:19], v[16:17], v[28:29]
	v_fma_f64 v[18:19], v[14:15], v[26:27], v[18:19]
	v_mul_f64 v[14:15], v[14:15], v[28:29]
	v_fma_f64 v[20:21], v[16:17], v[26:27], -v[14:15]
	ds_write_b128 v196, v[18:21] offset:29008
	v_add_co_u32 v18, vcc_lo, v2, s3
	v_add_co_ci_u32_e32 v19, vcc_lo, s2, v3, vcc_lo
	global_load_dwordx4 v[14:17], v[18:19], off
	global_load_dwordx4 v[26:29], v[0:1], off offset:1728
	v_add_co_u32 v18, vcc_lo, v18, s4
	v_add_co_ci_u32_e32 v19, vcc_lo, s5, v19, vcc_lo
	v_add_co_u32 v20, vcc_lo, 0x800, v197
	v_add_co_ci_u32_e32 v21, vcc_lo, 0, v204, vcc_lo
	s_waitcnt vmcnt(0)
	buffer_store_dword v26, off, s[36:39], 0 offset:332 ; 4-byte Folded Spill
	buffer_store_dword v27, off, s[36:39], 0 offset:336 ; 4-byte Folded Spill
	;; [unrolled: 1-line block ×4, first 2 shown]
	v_mul_f64 v[0:1], v[16:17], v[28:29]
	v_mul_f64 v[2:3], v[14:15], v[28:29]
	v_fma_f64 v[0:1], v[14:15], v[26:27], v[0:1]
	v_fma_f64 v[2:3], v[16:17], v[26:27], -v[2:3]
	global_load_dwordx4 v[26:29], v[20:21], off offset:304
	ds_write_b128 v196, v[0:3] offset:34496
	global_load_dwordx4 v[0:3], v[18:19], off
	v_add_co_u32 v18, vcc_lo, v18, s3
	v_add_co_ci_u32_e32 v19, vcc_lo, s2, v19, vcc_lo
	s_waitcnt vmcnt(1)
	buffer_store_dword v26, off, s[36:39], 0 offset:364 ; 4-byte Folded Spill
	buffer_store_dword v27, off, s[36:39], 0 offset:368 ; 4-byte Folded Spill
	;; [unrolled: 1-line block ×4, first 2 shown]
	s_waitcnt vmcnt(0)
	v_mul_f64 v[14:15], v[2:3], v[28:29]
	v_fma_f64 v[14:15], v[0:1], v[26:27], v[14:15]
	v_mul_f64 v[0:1], v[0:1], v[28:29]
	v_fma_f64 v[16:17], v[2:3], v[26:27], -v[0:1]
	ds_write_b128 v196, v[14:17] offset:2352
	global_load_dwordx4 v[0:3], v[18:19], off
	global_load_dwordx4 v[26:29], v[10:11], off offset:1696
	s_waitcnt vmcnt(0)
	buffer_store_dword v26, off, s[36:39], 0 offset:380 ; 4-byte Folded Spill
	buffer_store_dword v27, off, s[36:39], 0 offset:384 ; 4-byte Folded Spill
	;; [unrolled: 1-line block ×4, first 2 shown]
	v_mul_f64 v[10:11], v[2:3], v[28:29]
	v_fma_f64 v[14:15], v[0:1], v[26:27], v[10:11]
	v_mul_f64 v[0:1], v[0:1], v[28:29]
	v_add_co_u32 v10, vcc_lo, v18, s3
	v_add_co_ci_u32_e32 v11, vcc_lo, s2, v19, vcc_lo
	v_fma_f64 v[16:17], v[2:3], v[26:27], -v[0:1]
	ds_write_b128 v196, v[14:17] offset:7840
	global_load_dwordx4 v[0:3], v[10:11], off
	global_load_dwordx4 v[16:19], v[24:25], off offset:1040
	v_add_co_u32 v10, vcc_lo, v10, s3
	v_add_co_ci_u32_e32 v11, vcc_lo, s2, v11, vcc_lo
	v_add_co_u32 v26, vcc_lo, 0x4800, v197
	v_add_co_ci_u32_e32 v27, vcc_lo, 0, v204, vcc_lo
	s_waitcnt vmcnt(0)
	buffer_store_dword v16, off, s[36:39], 0 offset:396 ; 4-byte Folded Spill
	buffer_store_dword v17, off, s[36:39], 0 offset:400 ; 4-byte Folded Spill
	;; [unrolled: 1-line block ×4, first 2 shown]
	v_mul_f64 v[14:15], v[2:3], v[18:19]
	v_fma_f64 v[14:15], v[0:1], v[16:17], v[14:15]
	v_mul_f64 v[0:1], v[0:1], v[18:19]
	v_fma_f64 v[16:17], v[2:3], v[16:17], -v[0:1]
	global_load_dwordx4 v[0:3], v[10:11], off
	ds_write_b128 v196, v[14:17] offset:13328
	global_load_dwordx4 v[16:19], v[26:27], off offset:384
	s_waitcnt vmcnt(0)
	buffer_store_dword v16, off, s[36:39], 0 offset:668 ; 4-byte Folded Spill
	buffer_store_dword v17, off, s[36:39], 0 offset:672 ; 4-byte Folded Spill
	;; [unrolled: 1-line block ×4, first 2 shown]
	v_mul_f64 v[14:15], v[2:3], v[18:19]
	v_fma_f64 v[14:15], v[0:1], v[16:17], v[14:15]
	v_mul_f64 v[0:1], v[0:1], v[18:19]
	v_fma_f64 v[16:17], v[2:3], v[16:17], -v[0:1]
	ds_write_b128 v196, v[14:17] offset:18816
	v_add_co_u32 v14, vcc_lo, v10, s3
	v_add_co_ci_u32_e32 v15, vcc_lo, s2, v11, vcc_lo
	global_load_dwordx4 v[0:3], v[14:15], off
	global_load_dwordx4 v[16:19], v[12:13], off offset:1776
	v_add_co_u32 v14, vcc_lo, v14, s3
	v_add_co_ci_u32_e32 v15, vcc_lo, s2, v15, vcc_lo
	s_waitcnt vmcnt(0)
	buffer_store_dword v16, off, s[36:39], 0 offset:588 ; 4-byte Folded Spill
	buffer_store_dword v17, off, s[36:39], 0 offset:592 ; 4-byte Folded Spill
	;; [unrolled: 1-line block ×4, first 2 shown]
	v_mul_f64 v[10:11], v[2:3], v[18:19]
	v_fma_f64 v[10:11], v[0:1], v[16:17], v[10:11]
	v_mul_f64 v[0:1], v[0:1], v[18:19]
	v_fma_f64 v[12:13], v[2:3], v[16:17], -v[0:1]
	ds_write_b128 v196, v[10:13] offset:24304
	global_load_dwordx4 v[0:3], v[14:15], off
	global_load_dwordx4 v[16:19], v[22:23], off offset:1120
	v_add_co_u32 v14, vcc_lo, v14, s3
	v_add_co_ci_u32_e32 v15, vcc_lo, s2, v15, vcc_lo
	v_add_co_u32 v28, vcc_lo, 0x8800, v197
	v_add_co_ci_u32_e32 v29, vcc_lo, 0, v204, vcc_lo
	s_waitcnt vmcnt(0)
	buffer_store_dword v16, off, s[36:39], 0 offset:540 ; 4-byte Folded Spill
	buffer_store_dword v17, off, s[36:39], 0 offset:544 ; 4-byte Folded Spill
	;; [unrolled: 1-line block ×4, first 2 shown]
	v_mul_f64 v[10:11], v[2:3], v[18:19]
	v_fma_f64 v[10:11], v[0:1], v[16:17], v[10:11]
	v_mul_f64 v[0:1], v[0:1], v[18:19]
	v_fma_f64 v[12:13], v[2:3], v[16:17], -v[0:1]
	global_load_dwordx4 v[16:19], v[28:29], off offset:464
	global_load_dwordx4 v[0:3], v[14:15], off
	v_add_co_u32 v14, vcc_lo, v14, s4
	v_add_co_ci_u32_e32 v15, vcc_lo, s5, v15, vcc_lo
	ds_write_b128 v196, v[10:13] offset:29792
	s_waitcnt vmcnt(1)
	buffer_store_dword v16, off, s[36:39], 0 offset:604 ; 4-byte Folded Spill
	buffer_store_dword v17, off, s[36:39], 0 offset:608 ; 4-byte Folded Spill
	;; [unrolled: 1-line block ×4, first 2 shown]
	s_waitcnt vmcnt(0)
	v_mul_f64 v[10:11], v[2:3], v[18:19]
	v_fma_f64 v[10:11], v[0:1], v[16:17], v[10:11]
	v_mul_f64 v[0:1], v[0:1], v[18:19]
	v_fma_f64 v[12:13], v[2:3], v[16:17], -v[0:1]
	ds_write_b128 v196, v[10:13] offset:35280
	global_load_dwordx4 v[0:3], v[14:15], off
	global_load_dwordx4 v[16:19], v[20:21], off offset:1088
	s_waitcnt vmcnt(0)
	buffer_store_dword v16, off, s[36:39], 0 offset:620 ; 4-byte Folded Spill
	buffer_store_dword v17, off, s[36:39], 0 offset:624 ; 4-byte Folded Spill
	;; [unrolled: 1-line block ×4, first 2 shown]
	v_mul_f64 v[10:11], v[2:3], v[18:19]
	v_fma_f64 v[10:11], v[0:1], v[16:17], v[10:11]
	v_mul_f64 v[0:1], v[0:1], v[18:19]
	v_fma_f64 v[12:13], v[2:3], v[16:17], -v[0:1]
	ds_write_b128 v196, v[10:13] offset:3136
	v_add_co_u32 v10, vcc_lo, v14, s3
	v_add_co_ci_u32_e32 v11, vcc_lo, s2, v15, vcc_lo
	v_add_co_u32 v12, vcc_lo, 0x2000, v197
	v_add_co_ci_u32_e32 v13, vcc_lo, 0, v204, vcc_lo
	global_load_dwordx4 v[0:3], v[10:11], off
	v_add_co_u32 v10, vcc_lo, v10, s3
	global_load_dwordx4 v[16:19], v[12:13], off offset:432
	v_add_co_ci_u32_e32 v11, vcc_lo, s2, v11, vcc_lo
	s_waitcnt vmcnt(0)
	buffer_store_dword v16, off, s[36:39], 0 offset:684 ; 4-byte Folded Spill
	buffer_store_dword v17, off, s[36:39], 0 offset:688 ; 4-byte Folded Spill
	;; [unrolled: 1-line block ×4, first 2 shown]
	v_mul_f64 v[14:15], v[2:3], v[18:19]
	v_fma_f64 v[14:15], v[0:1], v[16:17], v[14:15]
	v_mul_f64 v[0:1], v[0:1], v[18:19]
	v_fma_f64 v[16:17], v[2:3], v[16:17], -v[0:1]
	ds_write_b128 v196, v[14:17] offset:8624
	global_load_dwordx4 v[0:3], v[10:11], off
	global_load_dwordx4 v[16:19], v[24:25], off offset:1824
	v_add_co_u32 v10, vcc_lo, v10, s3
	v_add_co_ci_u32_e32 v11, vcc_lo, s2, v11, vcc_lo
	s_waitcnt vmcnt(0)
	buffer_store_dword v16, off, s[36:39], 0 offset:636 ; 4-byte Folded Spill
	buffer_store_dword v17, off, s[36:39], 0 offset:640 ; 4-byte Folded Spill
	;; [unrolled: 1-line block ×4, first 2 shown]
	v_mul_f64 v[14:15], v[2:3], v[18:19]
	v_fma_f64 v[14:15], v[0:1], v[16:17], v[14:15]
	v_mul_f64 v[0:1], v[0:1], v[18:19]
	v_fma_f64 v[16:17], v[2:3], v[16:17], -v[0:1]
	ds_write_b128 v196, v[14:17] offset:14112
	global_load_dwordx4 v[0:3], v[10:11], off
	global_load_dwordx4 v[16:19], v[26:27], off offset:1168
	v_add_co_u32 v10, vcc_lo, v10, s3
	v_add_co_ci_u32_e32 v11, vcc_lo, s2, v11, vcc_lo
	v_add_co_u32 v24, vcc_lo, 0x6000, v197
	v_add_co_ci_u32_e32 v25, vcc_lo, 0, v204, vcc_lo
	s_waitcnt vmcnt(0)
	buffer_store_dword v16, off, s[36:39], 0 offset:556 ; 4-byte Folded Spill
	buffer_store_dword v17, off, s[36:39], 0 offset:560 ; 4-byte Folded Spill
	buffer_store_dword v18, off, s[36:39], 0 offset:564 ; 4-byte Folded Spill
	buffer_store_dword v19, off, s[36:39], 0 offset:568 ; 4-byte Folded Spill
	v_mul_f64 v[14:15], v[2:3], v[18:19]
	v_fma_f64 v[14:15], v[0:1], v[16:17], v[14:15]
	v_mul_f64 v[0:1], v[0:1], v[18:19]
	v_fma_f64 v[16:17], v[2:3], v[16:17], -v[0:1]
	global_load_dwordx4 v[0:3], v[10:11], off
	v_add_co_u32 v10, vcc_lo, v10, s3
	v_add_co_ci_u32_e32 v11, vcc_lo, s2, v11, vcc_lo
	ds_write_b128 v196, v[14:17] offset:19600
	global_load_dwordx4 v[16:19], v[24:25], off offset:512
	s_waitcnt vmcnt(0)
	buffer_store_dword v16, off, s[36:39], 0 offset:652 ; 4-byte Folded Spill
	buffer_store_dword v17, off, s[36:39], 0 offset:656 ; 4-byte Folded Spill
	;; [unrolled: 1-line block ×4, first 2 shown]
	v_mul_f64 v[14:15], v[2:3], v[18:19]
	v_fma_f64 v[14:15], v[0:1], v[16:17], v[14:15]
	v_mul_f64 v[0:1], v[0:1], v[18:19]
	v_fma_f64 v[16:17], v[2:3], v[16:17], -v[0:1]
	ds_write_b128 v196, v[14:17] offset:25088
	global_load_dwordx4 v[0:3], v[10:11], off
	global_load_dwordx4 v[16:19], v[22:23], off offset:1904
	v_add_co_u32 v10, vcc_lo, v10, s3
	v_add_co_ci_u32_e32 v11, vcc_lo, s2, v11, vcc_lo
	s_waitcnt vmcnt(0)
	buffer_store_dword v16, off, s[36:39], 0 offset:572 ; 4-byte Folded Spill
	buffer_store_dword v17, off, s[36:39], 0 offset:576 ; 4-byte Folded Spill
	;; [unrolled: 1-line block ×4, first 2 shown]
	v_mul_f64 v[14:15], v[2:3], v[18:19]
	v_fma_f64 v[14:15], v[0:1], v[16:17], v[14:15]
	v_mul_f64 v[0:1], v[0:1], v[18:19]
	v_fma_f64 v[16:17], v[2:3], v[16:17], -v[0:1]
	ds_write_b128 v196, v[14:17] offset:30576
	global_load_dwordx4 v[0:3], v[10:11], off
	global_load_dwordx4 v[16:19], v[28:29], off offset:1248
	v_add_co_u32 v10, vcc_lo, v10, s4
	v_add_co_ci_u32_e32 v11, vcc_lo, s5, v11, vcc_lo
	s_waitcnt vmcnt(0)
	buffer_store_dword v16, off, s[36:39], 0 offset:492 ; 4-byte Folded Spill
	buffer_store_dword v17, off, s[36:39], 0 offset:496 ; 4-byte Folded Spill
	;; [unrolled: 1-line block ×4, first 2 shown]
	buffer_store_dword v30, off, s[36:39], 0 ; 4-byte Folded Spill
	v_mul_f64 v[14:15], v[2:3], v[18:19]
	v_fma_f64 v[14:15], v[0:1], v[16:17], v[14:15]
	v_mul_f64 v[0:1], v[0:1], v[18:19]
	v_fma_f64 v[16:17], v[2:3], v[16:17], -v[0:1]
	ds_write_b128 v196, v[14:17] offset:36064
	global_load_dwordx4 v[0:3], v[10:11], off
	global_load_dwordx4 v[16:19], v[20:21], off offset:1872
	v_add_co_u32 v10, vcc_lo, v10, s3
	v_add_co_ci_u32_e32 v11, vcc_lo, s2, v11, vcc_lo
	s_waitcnt vmcnt(0)
	buffer_store_dword v16, off, s[36:39], 0 offset:508 ; 4-byte Folded Spill
	buffer_store_dword v17, off, s[36:39], 0 offset:512 ; 4-byte Folded Spill
	;; [unrolled: 1-line block ×4, first 2 shown]
	v_mul_f64 v[14:15], v[2:3], v[18:19]
	v_fma_f64 v[14:15], v[0:1], v[16:17], v[14:15]
	v_mul_f64 v[0:1], v[0:1], v[18:19]
	v_fma_f64 v[16:17], v[2:3], v[16:17], -v[0:1]
	ds_write_b128 v196, v[14:17] offset:3920
	global_load_dwordx4 v[0:3], v[10:11], off
	global_load_dwordx4 v[16:19], v[12:13], off offset:1216
	v_add_co_u32 v10, vcc_lo, v10, s3
	v_add_co_ci_u32_e32 v11, vcc_lo, s2, v11, vcc_lo
	s_waitcnt vmcnt(0)
	buffer_store_dword v16, off, s[36:39], 0 offset:444 ; 4-byte Folded Spill
	buffer_store_dword v17, off, s[36:39], 0 offset:448 ; 4-byte Folded Spill
	;; [unrolled: 1-line block ×4, first 2 shown]
	v_mul_f64 v[14:15], v[2:3], v[18:19]
	v_fma_f64 v[14:15], v[0:1], v[16:17], v[14:15]
	v_mul_f64 v[0:1], v[0:1], v[18:19]
	v_fma_f64 v[16:17], v[2:3], v[16:17], -v[0:1]
	global_load_dwordx4 v[0:3], v[10:11], off
	ds_write_b128 v196, v[14:17] offset:9408
	v_add_co_u32 v14, vcc_lo, 0x3800, v197
	v_add_co_ci_u32_e32 v15, vcc_lo, 0, v204, vcc_lo
	v_add_co_u32 v10, vcc_lo, v10, s3
	v_add_co_ci_u32_e32 v11, vcc_lo, s2, v11, vcc_lo
	global_load_dwordx4 v[18:21], v[14:15], off offset:560
	s_waitcnt vmcnt(0)
	buffer_store_dword v18, off, s[36:39], 0 offset:524 ; 4-byte Folded Spill
	buffer_store_dword v19, off, s[36:39], 0 offset:528 ; 4-byte Folded Spill
	;; [unrolled: 1-line block ×4, first 2 shown]
	v_mul_f64 v[16:17], v[2:3], v[20:21]
	v_fma_f64 v[16:17], v[0:1], v[18:19], v[16:17]
	v_mul_f64 v[0:1], v[0:1], v[20:21]
	v_fma_f64 v[18:19], v[2:3], v[18:19], -v[0:1]
	ds_write_b128 v196, v[16:19] offset:14896
	global_load_dwordx4 v[0:3], v[10:11], off
	global_load_dwordx4 v[18:21], v[26:27], off offset:1952
	v_add_co_u32 v10, vcc_lo, v10, s3
	v_add_co_ci_u32_e32 v11, vcc_lo, s2, v11, vcc_lo
	s_waitcnt vmcnt(0)
	buffer_store_dword v18, off, s[36:39], 0 offset:460 ; 4-byte Folded Spill
	buffer_store_dword v19, off, s[36:39], 0 offset:464 ; 4-byte Folded Spill
	;; [unrolled: 1-line block ×4, first 2 shown]
	v_mul_f64 v[16:17], v[2:3], v[20:21]
	v_fma_f64 v[16:17], v[0:1], v[18:19], v[16:17]
	v_mul_f64 v[0:1], v[0:1], v[20:21]
	v_fma_f64 v[18:19], v[2:3], v[18:19], -v[0:1]
	ds_write_b128 v196, v[16:19] offset:20384
	global_load_dwordx4 v[0:3], v[10:11], off
	global_load_dwordx4 v[18:21], v[24:25], off offset:1296
	s_waitcnt vmcnt(0)
	buffer_store_dword v18, off, s[36:39], 0 offset:412 ; 4-byte Folded Spill
	buffer_store_dword v19, off, s[36:39], 0 offset:416 ; 4-byte Folded Spill
	;; [unrolled: 1-line block ×4, first 2 shown]
	v_mul_f64 v[16:17], v[2:3], v[20:21]
	v_fma_f64 v[16:17], v[0:1], v[18:19], v[16:17]
	v_mul_f64 v[0:1], v[0:1], v[20:21]
	v_add_co_u32 v20, vcc_lo, v10, s3
	v_add_co_ci_u32_e32 v21, vcc_lo, s2, v11, vcc_lo
	v_add_co_u32 v10, vcc_lo, 0x7800, v197
	v_add_co_ci_u32_e32 v11, vcc_lo, 0, v204, vcc_lo
	global_load_dwordx4 v[22:25], v[10:11], off offset:640
	v_fma_f64 v[18:19], v[2:3], v[18:19], -v[0:1]
	global_load_dwordx4 v[0:3], v[20:21], off
	v_add_co_u32 v20, vcc_lo, v20, s3
	v_add_co_ci_u32_e32 v21, vcc_lo, s2, v21, vcc_lo
	ds_write_b128 v196, v[16:19] offset:25872
	s_waitcnt vmcnt(1)
	buffer_store_dword v22, off, s[36:39], 0 offset:476 ; 4-byte Folded Spill
	buffer_store_dword v23, off, s[36:39], 0 offset:480 ; 4-byte Folded Spill
	;; [unrolled: 1-line block ×4, first 2 shown]
	s_waitcnt vmcnt(0)
	v_mul_f64 v[16:17], v[2:3], v[24:25]
	v_fma_f64 v[16:17], v[0:1], v[22:23], v[16:17]
	v_mul_f64 v[0:1], v[0:1], v[24:25]
	v_fma_f64 v[18:19], v[2:3], v[22:23], -v[0:1]
	ds_write_b128 v196, v[16:19] offset:31360
	global_load_dwordx4 v[0:3], v[20:21], off
	global_load_dwordx4 v[22:25], v[28:29], off offset:2032
	s_waitcnt vmcnt(0)
	buffer_store_dword v22, off, s[36:39], 0 offset:428 ; 4-byte Folded Spill
	buffer_store_dword v23, off, s[36:39], 0 offset:432 ; 4-byte Folded Spill
	;; [unrolled: 1-line block ×4, first 2 shown]
	v_mul_f64 v[16:17], v[2:3], v[24:25]
	v_fma_f64 v[16:17], v[0:1], v[22:23], v[16:17]
	v_mul_f64 v[0:1], v[0:1], v[24:25]
	v_fma_f64 v[18:19], v[2:3], v[22:23], -v[0:1]
	ds_write_b128 v196, v[16:19] offset:36848
	v_add_co_u32 v16, vcc_lo, v20, s4
	v_add_co_ci_u32_e32 v17, vcc_lo, s5, v21, vcc_lo
	global_load_dwordx4 v[0:3], v[16:17], off
	global_load_dwordx4 v[20:23], v[8:9], off offset:608
	s_mov_b32 s4, 0x429ad128
	s_mov_b32 s5, 0xbfebfeb5
	;; [unrolled: 1-line block ×3, first 2 shown]
	s_waitcnt vmcnt(0)
	buffer_store_dword v20, off, s[36:39], 0 offset:732 ; 4-byte Folded Spill
	buffer_store_dword v21, off, s[36:39], 0 offset:736 ; 4-byte Folded Spill
	;; [unrolled: 1-line block ×4, first 2 shown]
	v_mul_f64 v[8:9], v[2:3], v[22:23]
	v_fma_f64 v[18:19], v[0:1], v[20:21], v[8:9]
	v_mul_f64 v[0:1], v[0:1], v[22:23]
	v_add_co_u32 v8, vcc_lo, v16, s3
	v_add_co_ci_u32_e32 v9, vcc_lo, s2, v17, vcc_lo
	v_fma_f64 v[20:21], v[2:3], v[20:21], -v[0:1]
	ds_write_b128 v196, v[18:21] offset:4704
	global_load_dwordx4 v[0:3], v[8:9], off
	global_load_dwordx4 v[18:21], v[12:13], off offset:2000
	v_add_co_u32 v8, vcc_lo, v8, s3
	v_add_co_ci_u32_e32 v9, vcc_lo, s2, v9, vcc_lo
	s_waitcnt vmcnt(0)
	buffer_store_dword v18, off, s[36:39], 0 offset:716 ; 4-byte Folded Spill
	buffer_store_dword v19, off, s[36:39], 0 offset:720 ; 4-byte Folded Spill
	;; [unrolled: 1-line block ×4, first 2 shown]
	v_mul_f64 v[12:13], v[2:3], v[20:21]
	v_fma_f64 v[16:17], v[0:1], v[18:19], v[12:13]
	v_mul_f64 v[0:1], v[0:1], v[20:21]
	v_fma_f64 v[18:19], v[2:3], v[18:19], -v[0:1]
	ds_write_b128 v196, v[16:19] offset:10192
	global_load_dwordx4 v[0:3], v[8:9], off
	global_load_dwordx4 v[14:17], v[14:15], off offset:1344
	s_waitcnt vmcnt(0)
	buffer_store_dword v14, off, s[36:39], 0 offset:700 ; 4-byte Folded Spill
	buffer_store_dword v15, off, s[36:39], 0 offset:704 ; 4-byte Folded Spill
	buffer_store_dword v16, off, s[36:39], 0 offset:708 ; 4-byte Folded Spill
	buffer_store_dword v17, off, s[36:39], 0 offset:712 ; 4-byte Folded Spill
	v_mul_f64 v[12:13], v[2:3], v[16:17]
	v_fma_f64 v[12:13], v[0:1], v[14:15], v[12:13]
	v_mul_f64 v[0:1], v[0:1], v[16:17]
	v_fma_f64 v[14:15], v[2:3], v[14:15], -v[0:1]
	ds_write_b128 v196, v[12:15] offset:15680
	v_add_co_u32 v12, vcc_lo, v8, s3
	v_add_co_ci_u32_e32 v13, vcc_lo, s2, v9, vcc_lo
	global_load_dwordx4 v[0:3], v[12:13], off
	global_load_dwordx4 v[14:17], v[6:7], off offset:688
	s_waitcnt vmcnt(0)
	buffer_store_dword v14, off, s[36:39], 0 offset:748 ; 4-byte Folded Spill
	buffer_store_dword v15, off, s[36:39], 0 offset:752 ; 4-byte Folded Spill
	buffer_store_dword v16, off, s[36:39], 0 offset:756 ; 4-byte Folded Spill
	buffer_store_dword v17, off, s[36:39], 0 offset:760 ; 4-byte Folded Spill
	v_mul_f64 v[6:7], v[2:3], v[16:17]
	v_fma_f64 v[6:7], v[0:1], v[14:15], v[6:7]
	v_mul_f64 v[0:1], v[0:1], v[16:17]
	v_fma_f64 v[8:9], v[2:3], v[14:15], -v[0:1]
	ds_write_b128 v196, v[6:9] offset:21168
	v_add_co_u32 v8, vcc_lo, v12, s3
	v_add_co_ci_u32_e32 v9, vcc_lo, s2, v13, vcc_lo
	;; [unrolled: 14-line block ×3, first 2 shown]
	global_load_dwordx4 v[0:3], v[4:5], off
	global_load_dwordx4 v[10:13], v[10:11], off offset:1424
	s_waitcnt vmcnt(0)
	buffer_store_dword v10, off, s[36:39], 0 offset:780 ; 4-byte Folded Spill
	buffer_store_dword v11, off, s[36:39], 0 offset:784 ; 4-byte Folded Spill
	;; [unrolled: 1-line block ×4, first 2 shown]
	v_mul_f64 v[6:7], v[2:3], v[12:13]
	v_fma_f64 v[6:7], v[0:1], v[10:11], v[6:7]
	v_mul_f64 v[0:1], v[0:1], v[12:13]
	v_fma_f64 v[8:9], v[2:3], v[10:11], -v[0:1]
	v_add_co_u32 v0, vcc_lo, v4, s3
	v_add_co_ci_u32_e32 v1, vcc_lo, s2, v5, vcc_lo
	v_add_co_u32 v4, vcc_lo, 0x9000, v197
	v_add_co_ci_u32_e32 v5, vcc_lo, 0, v204, vcc_lo
	global_load_dwordx4 v[0:3], v[0:1], off
	s_mov_b32 s3, 0x3fdc38aa
	s_mov_b32 s2, 0x37c3f68c
	ds_write_b128 v196, v[6:9] offset:32144
	buffer_store_dword v4, off, s[36:39], 0 offset:2772 ; 4-byte Folded Spill
	buffer_store_dword v5, off, s[36:39], 0 offset:2776 ; 4-byte Folded Spill
	global_load_dwordx4 v[6:9], v[4:5], off offset:768
	s_waitcnt vmcnt(0)
	buffer_store_dword v6, off, s[36:39], 0 offset:4 ; 4-byte Folded Spill
	buffer_store_dword v7, off, s[36:39], 0 offset:8 ; 4-byte Folded Spill
	;; [unrolled: 1-line block ×4, first 2 shown]
	v_mul_f64 v[4:5], v[2:3], v[8:9]
	v_fma_f64 v[4:5], v[0:1], v[6:7], v[4:5]
	v_mul_f64 v[0:1], v[0:1], v[8:9]
	v_fma_f64 v[6:7], v[2:3], v[6:7], -v[0:1]
	ds_write_b128 v196, v[4:7] offset:37632
	s_waitcnt lgkmcnt(0)
	s_waitcnt_vscnt null, 0x0
	s_barrier
	buffer_gl0_inv
	ds_read_b128 v[4:7], v196
	ds_read_b128 v[24:27], v196 offset:5488
	ds_read_b128 v[16:19], v196 offset:10976
	ds_read_b128 v[8:11], v196 offset:16464
	ds_read_b128 v[12:15], v196 offset:21952
	ds_read_b128 v[20:23], v196 offset:27440
	ds_read_b128 v[28:31], v196 offset:32928
	ds_read_b128 v[32:35], v196 offset:784
	ds_read_b128 v[52:55], v196 offset:6272
	ds_read_b128 v[44:47], v196 offset:11760
	ds_read_b128 v[36:39], v196 offset:17248
	ds_read_b128 v[40:43], v196 offset:22736
	ds_read_b128 v[48:51], v196 offset:28224
	ds_read_b128 v[56:59], v196 offset:33712
	ds_read_b128 v[60:63], v196 offset:1568
	ds_read_b128 v[80:83], v196 offset:7056
	ds_read_b128 v[72:75], v196 offset:12544
	ds_read_b128 v[64:67], v196 offset:18032
	ds_read_b128 v[68:71], v196 offset:23520
	ds_read_b128 v[76:79], v196 offset:29008
	ds_read_b128 v[84:87], v196 offset:34496
	ds_read_b128 v[88:91], v196 offset:2352
	ds_read_b128 v[108:111], v196 offset:7840
	ds_read_b128 v[100:103], v196 offset:13328
	ds_read_b128 v[92:95], v196 offset:18816
	ds_read_b128 v[96:99], v196 offset:24304
	ds_read_b128 v[104:107], v196 offset:29792
	ds_read_b128 v[112:115], v196 offset:35280
	ds_read_b128 v[140:143], v196 offset:3136
	ds_read_b128 v[160:163], v196 offset:8624
	ds_read_b128 v[152:155], v196 offset:14112
	ds_read_b128 v[144:147], v196 offset:19600
	ds_read_b128 v[148:151], v196 offset:25088
	ds_read_b128 v[156:159], v196 offset:30576
	ds_read_b128 v[164:167], v196 offset:36064
	ds_read_b128 v[168:171], v196 offset:3920
	ds_read_b128 v[188:191], v196 offset:9408
	ds_read_b128 v[180:183], v196 offset:14896
	ds_read_b128 v[172:175], v196 offset:20384
	ds_read_b128 v[176:179], v196 offset:25872
	ds_read_b128 v[184:187], v196 offset:31360
	ds_read_b128 v[192:195], v196 offset:36848
	ds_read_b128 v[0:3], v196 offset:4704
	ds_read_b128 v[132:135], v196 offset:10192
	ds_read_b128 v[124:127], v196 offset:15680
	ds_read_b128 v[116:119], v196 offset:21168
	ds_read_b128 v[120:123], v196 offset:26656
	ds_read_b128 v[128:131], v196 offset:32144
	ds_read_b128 v[136:139], v196 offset:37632
	s_waitcnt lgkmcnt(42)
	v_add_f64 v[200:201], v[26:27], v[30:31]
	v_add_f64 v[26:27], v[26:27], -v[30:31]
	v_add_f64 v[30:31], v[18:19], v[22:23]
	v_add_f64 v[198:199], v[24:25], v[28:29]
	v_add_f64 v[24:25], v[24:25], -v[28:29]
	v_add_f64 v[28:29], v[16:17], v[20:21]
	v_add_f64 v[16:17], v[16:17], -v[20:21]
	v_add_f64 v[18:19], v[18:19], -v[22:23]
	v_add_f64 v[20:21], v[8:9], v[12:13]
	v_add_f64 v[22:23], v[10:11], v[14:15]
	v_add_f64 v[8:9], v[12:13], -v[8:9]
	v_add_f64 v[10:11], v[14:15], -v[10:11]
	s_waitcnt lgkmcnt(0)
	s_barrier
	buffer_gl0_inv
	v_add_f64 v[14:15], v[30:31], v[200:201]
	v_add_f64 v[208:209], v[30:31], -v[200:201]
	v_add_f64 v[12:13], v[28:29], v[198:199]
	v_add_f64 v[206:207], v[28:29], -v[198:199]
	v_add_f64 v[198:199], v[198:199], -v[20:21]
	;; [unrolled: 1-line block ×4, first 2 shown]
	v_add_f64 v[210:211], v[8:9], v[16:17]
	v_add_f64 v[212:213], v[10:11], v[18:19]
	v_add_f64 v[214:215], v[8:9], -v[16:17]
	v_add_f64 v[28:29], v[20:21], -v[28:29]
	;; [unrolled: 1-line block ×7, first 2 shown]
	v_add_f64 v[14:15], v[22:23], v[14:15]
	v_add_f64 v[12:13], v[20:21], v[12:13]
	;; [unrolled: 1-line block ×4, first 2 shown]
	v_mul_f64 v[26:27], v[200:201], s[26:27]
	v_mul_f64 v[200:201], v[30:31], s[6:7]
	;; [unrolled: 1-line block ×8, first 2 shown]
	v_add_f64 v[6:7], v[6:7], v[14:15]
	v_add_f64 v[4:5], v[4:5], v[12:13]
	v_fma_f64 v[30:31], v[30:31], s[6:7], v[26:27]
	v_fma_f64 v[200:201], v[208:209], s[14:15], -v[200:201]
	v_fma_f64 v[16:17], v[16:17], s[24:25], -v[210:211]
	v_fma_f64 v[28:29], v[28:29], s[6:7], v[24:25]
	v_fma_f64 v[198:199], v[206:207], s[14:15], -v[198:199]
	v_fma_f64 v[24:25], v[206:207], s[16:17], -v[24:25]
	;; [unrolled: 1-line block ×3, first 2 shown]
	v_fma_f64 v[206:207], v[8:9], s[8:9], v[210:211]
	v_fma_f64 v[208:209], v[10:11], s[8:9], v[212:213]
	v_fma_f64 v[18:19], v[18:19], s[24:25], -v[212:213]
	v_fma_f64 v[8:9], v[8:9], s[18:19], v[214:215]
	v_fma_f64 v[14:15], v[14:15], s[20:21], v[6:7]
	;; [unrolled: 1-line block ×9, first 2 shown]
	v_add_f64 v[200:201], v[200:201], v[14:15]
	v_fma_f64 v[10:11], v[22:23], s[2:3], v[10:11]
	v_add_f64 v[212:213], v[30:31], v[14:15]
	v_add_f64 v[198:199], v[198:199], v[12:13]
	;; [unrolled: 1-line block ×6, first 2 shown]
	v_add_f64 v[18:19], v[200:201], -v[214:215]
	v_add_f64 v[200:201], v[54:55], v[58:59]
	v_add_f64 v[54:55], v[54:55], -v[58:59]
	v_add_f64 v[58:59], v[46:47], v[50:51]
	;; [unrolled: 2-line block ×3, first 2 shown]
	v_add_f64 v[198:199], v[52:53], v[56:57]
	v_add_f64 v[52:53], v[52:53], -v[56:57]
	v_add_f64 v[56:57], v[44:45], v[48:49]
	v_add_f64 v[44:45], v[44:45], -v[48:49]
	v_add_f64 v[46:47], v[46:47], -v[50:51]
	v_add_f64 v[48:49], v[36:37], v[40:41]
	v_add_f64 v[50:51], v[38:39], v[42:43]
	v_add_f64 v[36:37], v[40:41], -v[36:37]
	v_add_f64 v[38:39], v[42:43], -v[38:39]
	v_add_f64 v[28:29], v[210:211], v[208:209]
	v_add_f64 v[30:31], v[212:213], -v[206:207]
	v_add_f64 v[24:25], v[12:13], v[10:11]
	v_add_f64 v[26:27], v[14:15], -v[8:9]
	v_add_f64 v[12:13], v[12:13], -v[10:11]
	v_add_f64 v[14:15], v[8:9], v[14:15]
	v_add_f64 v[8:9], v[210:211], -v[208:209]
	v_add_f64 v[10:11], v[206:207], v[212:213]
	v_add_f64 v[42:43], v[58:59], v[200:201]
	v_add_f64 v[208:209], v[58:59], -v[200:201]
	v_add_f64 v[40:41], v[56:57], v[198:199]
	v_add_f64 v[206:207], v[56:57], -v[198:199]
	v_add_f64 v[198:199], v[198:199], -v[48:49]
	v_add_f64 v[200:201], v[200:201], -v[50:51]
	v_add_f64 v[58:59], v[50:51], -v[58:59]
	v_add_f64 v[210:211], v[36:37], v[44:45]
	v_add_f64 v[212:213], v[38:39], v[46:47]
	v_add_f64 v[214:215], v[36:37], -v[44:45]
	v_add_f64 v[56:57], v[48:49], -v[56:57]
	;; [unrolled: 1-line block ×7, first 2 shown]
	v_add_f64 v[42:43], v[50:51], v[42:43]
	v_add_f64 v[40:41], v[48:49], v[40:41]
	;; [unrolled: 1-line block ×4, first 2 shown]
	v_mul_f64 v[54:55], v[200:201], s[26:27]
	v_mul_f64 v[200:201], v[58:59], s[6:7]
	;; [unrolled: 1-line block ×8, first 2 shown]
	v_add_f64 v[34:35], v[34:35], v[42:43]
	v_add_f64 v[32:33], v[32:33], v[40:41]
	v_fma_f64 v[58:59], v[58:59], s[6:7], v[54:55]
	v_fma_f64 v[200:201], v[208:209], s[14:15], -v[200:201]
	v_fma_f64 v[44:45], v[44:45], s[24:25], -v[210:211]
	v_fma_f64 v[56:57], v[56:57], s[6:7], v[52:53]
	v_fma_f64 v[198:199], v[206:207], s[14:15], -v[198:199]
	v_fma_f64 v[52:53], v[206:207], s[16:17], -v[52:53]
	;; [unrolled: 1-line block ×3, first 2 shown]
	v_fma_f64 v[206:207], v[36:37], s[8:9], v[210:211]
	v_fma_f64 v[208:209], v[38:39], s[8:9], v[212:213]
	;; [unrolled: 1-line block ×3, first 2 shown]
	v_fma_f64 v[46:47], v[46:47], s[24:25], -v[212:213]
	v_fma_f64 v[36:37], v[36:37], s[18:19], v[214:215]
	v_fma_f64 v[38:39], v[38:39], s[18:19], v[216:217]
	;; [unrolled: 1-line block ×6, first 2 shown]
	v_add_f64 v[200:201], v[200:201], v[42:43]
	v_fma_f64 v[44:45], v[50:51], s[2:3], v[46:47]
	v_add_f64 v[212:213], v[58:59], v[42:43]
	v_fma_f64 v[38:39], v[50:51], s[2:3], v[38:39]
	v_add_f64 v[42:43], v[54:55], v[42:43]
	v_add_f64 v[198:199], v[198:199], v[40:41]
	;; [unrolled: 1-line block ×4, first 2 shown]
	v_fma_f64 v[36:37], v[48:49], s[2:3], v[36:37]
	v_add_f64 v[50:51], v[214:215], v[200:201]
	v_add_f64 v[46:47], v[200:201], -v[214:215]
	v_add_f64 v[200:201], v[82:83], v[86:87]
	v_add_f64 v[82:83], v[82:83], -v[86:87]
	;; [unrolled: 2-line block ×3, first 2 shown]
	v_add_f64 v[44:45], v[198:199], v[44:45]
	v_add_f64 v[198:199], v[80:81], v[84:85]
	v_add_f64 v[80:81], v[80:81], -v[84:85]
	v_add_f64 v[84:85], v[72:73], v[76:77]
	v_add_f64 v[72:73], v[72:73], -v[76:77]
	v_add_f64 v[74:75], v[74:75], -v[78:79]
	v_add_f64 v[76:77], v[64:65], v[68:69]
	v_add_f64 v[78:79], v[66:67], v[70:71]
	v_add_f64 v[64:65], v[68:69], -v[64:65]
	v_add_f64 v[66:67], v[70:71], -v[66:67]
	v_add_f64 v[56:57], v[210:211], v[208:209]
	v_add_f64 v[58:59], v[212:213], -v[206:207]
	v_add_f64 v[52:53], v[40:41], v[38:39]
	v_add_f64 v[54:55], v[42:43], -v[36:37]
	v_add_f64 v[40:41], v[40:41], -v[38:39]
	v_add_f64 v[42:43], v[36:37], v[42:43]
	v_add_f64 v[36:37], v[210:211], -v[208:209]
	v_add_f64 v[38:39], v[206:207], v[212:213]
	v_add_f64 v[70:71], v[86:87], v[200:201]
	v_add_f64 v[208:209], v[86:87], -v[200:201]
	v_add_f64 v[68:69], v[84:85], v[198:199]
	v_add_f64 v[206:207], v[84:85], -v[198:199]
	v_add_f64 v[198:199], v[198:199], -v[76:77]
	;; [unrolled: 1-line block ×4, first 2 shown]
	v_add_f64 v[210:211], v[64:65], v[72:73]
	v_add_f64 v[212:213], v[66:67], v[74:75]
	v_add_f64 v[214:215], v[64:65], -v[72:73]
	v_add_f64 v[84:85], v[76:77], -v[84:85]
	v_add_f64 v[216:217], v[66:67], -v[74:75]
	v_add_f64 v[66:67], v[82:83], -v[66:67]
	v_add_f64 v[72:73], v[72:73], -v[80:81]
	v_add_f64 v[74:75], v[74:75], -v[82:83]
	v_add_f64 v[64:65], v[80:81], -v[64:65]
	v_add_f64 v[70:71], v[78:79], v[70:71]
	v_add_f64 v[68:69], v[76:77], v[68:69]
	;; [unrolled: 1-line block ×4, first 2 shown]
	v_mul_f64 v[82:83], v[200:201], s[26:27]
	v_mul_f64 v[200:201], v[86:87], s[6:7]
	;; [unrolled: 1-line block ×8, first 2 shown]
	v_add_f64 v[62:63], v[62:63], v[70:71]
	v_add_f64 v[60:61], v[60:61], v[68:69]
	v_fma_f64 v[86:87], v[86:87], s[6:7], v[82:83]
	v_fma_f64 v[200:201], v[208:209], s[14:15], -v[200:201]
	v_fma_f64 v[72:73], v[72:73], s[24:25], -v[210:211]
	v_fma_f64 v[84:85], v[84:85], s[6:7], v[80:81]
	v_fma_f64 v[198:199], v[206:207], s[14:15], -v[198:199]
	v_fma_f64 v[80:81], v[206:207], s[16:17], -v[80:81]
	;; [unrolled: 1-line block ×3, first 2 shown]
	v_fma_f64 v[206:207], v[64:65], s[8:9], v[210:211]
	v_fma_f64 v[208:209], v[66:67], s[8:9], v[212:213]
	;; [unrolled: 1-line block ×3, first 2 shown]
	v_fma_f64 v[74:75], v[74:75], s[24:25], -v[212:213]
	v_fma_f64 v[64:65], v[64:65], s[18:19], v[214:215]
	v_fma_f64 v[66:67], v[66:67], s[18:19], v[216:217]
	;; [unrolled: 1-line block ×6, first 2 shown]
	v_add_f64 v[200:201], v[200:201], v[70:71]
	v_fma_f64 v[72:73], v[78:79], s[2:3], v[74:75]
	v_add_f64 v[212:213], v[86:87], v[70:71]
	v_fma_f64 v[66:67], v[78:79], s[2:3], v[66:67]
	v_add_f64 v[70:71], v[82:83], v[70:71]
	v_add_f64 v[198:199], v[198:199], v[68:69]
	v_add_f64 v[210:211], v[84:85], v[68:69]
	v_add_f64 v[68:69], v[80:81], v[68:69]
	v_fma_f64 v[64:65], v[76:77], s[2:3], v[64:65]
	v_add_f64 v[78:79], v[214:215], v[200:201]
	v_add_f64 v[74:75], v[200:201], -v[214:215]
	v_add_f64 v[200:201], v[110:111], v[114:115]
	v_add_f64 v[110:111], v[110:111], -v[114:115]
	;; [unrolled: 2-line block ×3, first 2 shown]
	v_add_f64 v[72:73], v[198:199], v[72:73]
	v_add_f64 v[198:199], v[108:109], v[112:113]
	v_add_f64 v[108:109], v[108:109], -v[112:113]
	v_add_f64 v[112:113], v[100:101], v[104:105]
	v_add_f64 v[100:101], v[100:101], -v[104:105]
	v_add_f64 v[102:103], v[102:103], -v[106:107]
	v_add_f64 v[104:105], v[92:93], v[96:97]
	v_add_f64 v[106:107], v[94:95], v[98:99]
	v_add_f64 v[92:93], v[96:97], -v[92:93]
	v_add_f64 v[94:95], v[98:99], -v[94:95]
	v_add_f64 v[84:85], v[210:211], v[208:209]
	v_add_f64 v[86:87], v[212:213], -v[206:207]
	v_add_f64 v[80:81], v[68:69], v[66:67]
	v_add_f64 v[82:83], v[70:71], -v[64:65]
	v_add_f64 v[68:69], v[68:69], -v[66:67]
	v_add_f64 v[70:71], v[64:65], v[70:71]
	v_add_f64 v[64:65], v[210:211], -v[208:209]
	v_add_f64 v[66:67], v[206:207], v[212:213]
	v_add_f64 v[98:99], v[114:115], v[200:201]
	v_add_f64 v[208:209], v[114:115], -v[200:201]
	v_add_f64 v[96:97], v[112:113], v[198:199]
	v_add_f64 v[206:207], v[112:113], -v[198:199]
	v_add_f64 v[198:199], v[198:199], -v[104:105]
	;; [unrolled: 1-line block ×4, first 2 shown]
	v_add_f64 v[210:211], v[92:93], v[100:101]
	v_add_f64 v[212:213], v[94:95], v[102:103]
	v_add_f64 v[214:215], v[92:93], -v[100:101]
	v_add_f64 v[112:113], v[104:105], -v[112:113]
	;; [unrolled: 1-line block ×7, first 2 shown]
	v_add_f64 v[98:99], v[106:107], v[98:99]
	v_add_f64 v[96:97], v[104:105], v[96:97]
	;; [unrolled: 1-line block ×4, first 2 shown]
	v_mul_f64 v[110:111], v[200:201], s[26:27]
	v_mul_f64 v[200:201], v[114:115], s[6:7]
	;; [unrolled: 1-line block ×8, first 2 shown]
	v_add_f64 v[90:91], v[90:91], v[98:99]
	v_add_f64 v[88:89], v[88:89], v[96:97]
	v_fma_f64 v[114:115], v[114:115], s[6:7], v[110:111]
	v_fma_f64 v[200:201], v[208:209], s[14:15], -v[200:201]
	v_fma_f64 v[100:101], v[100:101], s[24:25], -v[210:211]
	v_fma_f64 v[112:113], v[112:113], s[6:7], v[108:109]
	v_fma_f64 v[198:199], v[206:207], s[14:15], -v[198:199]
	v_fma_f64 v[108:109], v[206:207], s[16:17], -v[108:109]
	;; [unrolled: 1-line block ×3, first 2 shown]
	v_fma_f64 v[206:207], v[92:93], s[8:9], v[210:211]
	v_fma_f64 v[208:209], v[94:95], s[8:9], v[212:213]
	;; [unrolled: 1-line block ×3, first 2 shown]
	v_fma_f64 v[102:103], v[102:103], s[24:25], -v[212:213]
	v_fma_f64 v[92:93], v[92:93], s[18:19], v[214:215]
	v_fma_f64 v[94:95], v[94:95], s[18:19], v[216:217]
	;; [unrolled: 1-line block ×6, first 2 shown]
	v_add_f64 v[200:201], v[200:201], v[98:99]
	v_fma_f64 v[100:101], v[106:107], s[2:3], v[102:103]
	v_add_f64 v[212:213], v[114:115], v[98:99]
	v_fma_f64 v[94:95], v[106:107], s[2:3], v[94:95]
	v_add_f64 v[98:99], v[110:111], v[98:99]
	v_add_f64 v[198:199], v[198:199], v[96:97]
	;; [unrolled: 1-line block ×4, first 2 shown]
	v_fma_f64 v[92:93], v[104:105], s[2:3], v[92:93]
	v_add_f64 v[106:107], v[214:215], v[200:201]
	v_add_f64 v[102:103], v[200:201], -v[214:215]
	v_add_f64 v[200:201], v[162:163], v[166:167]
	v_add_f64 v[162:163], v[162:163], -v[166:167]
	;; [unrolled: 2-line block ×3, first 2 shown]
	v_add_f64 v[100:101], v[198:199], v[100:101]
	v_add_f64 v[198:199], v[160:161], v[164:165]
	v_add_f64 v[160:161], v[160:161], -v[164:165]
	v_add_f64 v[164:165], v[152:153], v[156:157]
	v_add_f64 v[152:153], v[152:153], -v[156:157]
	v_add_f64 v[154:155], v[154:155], -v[158:159]
	v_add_f64 v[156:157], v[144:145], v[148:149]
	v_add_f64 v[158:159], v[146:147], v[150:151]
	v_add_f64 v[144:145], v[148:149], -v[144:145]
	v_add_f64 v[146:147], v[150:151], -v[146:147]
	v_add_f64 v[112:113], v[210:211], v[208:209]
	v_add_f64 v[114:115], v[212:213], -v[206:207]
	v_add_f64 v[108:109], v[96:97], v[94:95]
	v_add_f64 v[110:111], v[98:99], -v[92:93]
	v_add_f64 v[96:97], v[96:97], -v[94:95]
	v_add_f64 v[98:99], v[92:93], v[98:99]
	v_add_f64 v[92:93], v[210:211], -v[208:209]
	v_add_f64 v[94:95], v[206:207], v[212:213]
	v_add_f64 v[150:151], v[166:167], v[200:201]
	v_add_f64 v[208:209], v[166:167], -v[200:201]
	v_add_f64 v[148:149], v[164:165], v[198:199]
	v_add_f64 v[206:207], v[164:165], -v[198:199]
	v_add_f64 v[198:199], v[198:199], -v[156:157]
	;; [unrolled: 1-line block ×4, first 2 shown]
	v_add_f64 v[210:211], v[144:145], v[152:153]
	v_add_f64 v[212:213], v[146:147], v[154:155]
	v_add_f64 v[214:215], v[144:145], -v[152:153]
	v_add_f64 v[164:165], v[156:157], -v[164:165]
	;; [unrolled: 1-line block ×7, first 2 shown]
	v_add_f64 v[150:151], v[158:159], v[150:151]
	v_add_f64 v[148:149], v[156:157], v[148:149]
	v_add_f64 v[156:157], v[210:211], v[160:161]
	v_add_f64 v[158:159], v[212:213], v[162:163]
	v_mul_f64 v[162:163], v[200:201], s[26:27]
	v_mul_f64 v[200:201], v[166:167], s[6:7]
	;; [unrolled: 1-line block ×8, first 2 shown]
	v_add_f64 v[142:143], v[142:143], v[150:151]
	v_add_f64 v[140:141], v[140:141], v[148:149]
	v_fma_f64 v[166:167], v[166:167], s[6:7], v[162:163]
	v_fma_f64 v[200:201], v[208:209], s[14:15], -v[200:201]
	v_fma_f64 v[152:153], v[152:153], s[24:25], -v[210:211]
	v_fma_f64 v[164:165], v[164:165], s[6:7], v[160:161]
	v_fma_f64 v[198:199], v[206:207], s[14:15], -v[198:199]
	v_fma_f64 v[160:161], v[206:207], s[16:17], -v[160:161]
	;; [unrolled: 1-line block ×3, first 2 shown]
	v_fma_f64 v[206:207], v[144:145], s[8:9], v[210:211]
	v_fma_f64 v[208:209], v[146:147], s[8:9], v[212:213]
	;; [unrolled: 1-line block ×3, first 2 shown]
	v_fma_f64 v[154:155], v[154:155], s[24:25], -v[212:213]
	v_fma_f64 v[144:145], v[144:145], s[18:19], v[214:215]
	v_fma_f64 v[146:147], v[146:147], s[18:19], v[216:217]
	;; [unrolled: 1-line block ×6, first 2 shown]
	v_add_f64 v[200:201], v[200:201], v[150:151]
	v_fma_f64 v[152:153], v[158:159], s[2:3], v[154:155]
	v_add_f64 v[212:213], v[166:167], v[150:151]
	v_fma_f64 v[146:147], v[158:159], s[2:3], v[146:147]
	v_add_f64 v[150:151], v[162:163], v[150:151]
	v_add_f64 v[198:199], v[198:199], v[148:149]
	;; [unrolled: 1-line block ×4, first 2 shown]
	v_fma_f64 v[144:145], v[156:157], s[2:3], v[144:145]
	v_add_f64 v[158:159], v[214:215], v[200:201]
	v_add_f64 v[154:155], v[200:201], -v[214:215]
	v_add_f64 v[200:201], v[190:191], v[194:195]
	v_add_f64 v[190:191], v[190:191], -v[194:195]
	;; [unrolled: 2-line block ×3, first 2 shown]
	v_add_f64 v[152:153], v[198:199], v[152:153]
	v_add_f64 v[198:199], v[188:189], v[192:193]
	v_add_f64 v[188:189], v[188:189], -v[192:193]
	v_add_f64 v[192:193], v[180:181], v[184:185]
	v_add_f64 v[180:181], v[180:181], -v[184:185]
	v_add_f64 v[182:183], v[182:183], -v[186:187]
	v_add_f64 v[184:185], v[172:173], v[176:177]
	v_add_f64 v[186:187], v[174:175], v[178:179]
	v_add_f64 v[172:173], v[176:177], -v[172:173]
	v_add_f64 v[174:175], v[178:179], -v[174:175]
	v_add_f64 v[164:165], v[210:211], v[208:209]
	v_add_f64 v[166:167], v[212:213], -v[206:207]
	v_add_f64 v[160:161], v[148:149], v[146:147]
	v_add_f64 v[162:163], v[150:151], -v[144:145]
	v_add_f64 v[148:149], v[148:149], -v[146:147]
	v_add_f64 v[150:151], v[144:145], v[150:151]
	v_add_f64 v[144:145], v[210:211], -v[208:209]
	v_add_f64 v[146:147], v[206:207], v[212:213]
	v_add_f64 v[178:179], v[194:195], v[200:201]
	v_add_f64 v[208:209], v[194:195], -v[200:201]
	v_add_f64 v[176:177], v[192:193], v[198:199]
	v_add_f64 v[206:207], v[192:193], -v[198:199]
	v_add_f64 v[198:199], v[198:199], -v[184:185]
	;; [unrolled: 1-line block ×4, first 2 shown]
	v_add_f64 v[210:211], v[172:173], v[180:181]
	v_add_f64 v[212:213], v[174:175], v[182:183]
	v_add_f64 v[214:215], v[172:173], -v[180:181]
	v_add_f64 v[192:193], v[184:185], -v[192:193]
	v_add_f64 v[216:217], v[174:175], -v[182:183]
	v_add_f64 v[174:175], v[190:191], -v[174:175]
	v_add_f64 v[180:181], v[180:181], -v[188:189]
	v_add_f64 v[182:183], v[182:183], -v[190:191]
	v_add_f64 v[172:173], v[188:189], -v[172:173]
	v_add_f64 v[178:179], v[186:187], v[178:179]
	v_add_f64 v[176:177], v[184:185], v[176:177]
	;; [unrolled: 1-line block ×4, first 2 shown]
	v_mul_f64 v[190:191], v[200:201], s[26:27]
	v_mul_f64 v[200:201], v[194:195], s[6:7]
	;; [unrolled: 1-line block ×8, first 2 shown]
	v_add_f64 v[170:171], v[170:171], v[178:179]
	v_add_f64 v[168:169], v[168:169], v[176:177]
	v_fma_f64 v[194:195], v[194:195], s[6:7], v[190:191]
	v_fma_f64 v[200:201], v[208:209], s[14:15], -v[200:201]
	v_fma_f64 v[180:181], v[180:181], s[24:25], -v[210:211]
	v_fma_f64 v[192:193], v[192:193], s[6:7], v[188:189]
	v_fma_f64 v[198:199], v[206:207], s[14:15], -v[198:199]
	v_fma_f64 v[188:189], v[206:207], s[16:17], -v[188:189]
	;; [unrolled: 1-line block ×3, first 2 shown]
	v_fma_f64 v[206:207], v[172:173], s[8:9], v[210:211]
	v_fma_f64 v[208:209], v[174:175], s[8:9], v[212:213]
	;; [unrolled: 1-line block ×3, first 2 shown]
	v_fma_f64 v[182:183], v[182:183], s[24:25], -v[212:213]
	v_fma_f64 v[172:173], v[172:173], s[18:19], v[214:215]
	v_fma_f64 v[174:175], v[174:175], s[18:19], v[216:217]
	;; [unrolled: 1-line block ×6, first 2 shown]
	v_add_f64 v[200:201], v[200:201], v[178:179]
	v_fma_f64 v[180:181], v[186:187], s[2:3], v[182:183]
	v_fma_f64 v[216:217], v[184:185], s[2:3], v[172:173]
	;; [unrolled: 1-line block ×3, first 2 shown]
	v_add_f64 v[212:213], v[194:195], v[178:179]
	v_add_f64 v[198:199], v[198:199], v[176:177]
	;; [unrolled: 1-line block ×6, first 2 shown]
	v_add_f64 v[182:183], v[200:201], -v[214:215]
	v_add_f64 v[200:201], v[132:133], v[136:137]
	v_add_f64 v[132:133], v[132:133], -v[136:137]
	v_add_f64 v[136:137], v[124:125], v[128:129]
	v_add_f64 v[184:185], v[198:199], -v[180:181]
	v_add_f64 v[180:181], v[198:199], v[180:181]
	v_add_f64 v[198:199], v[134:135], v[138:139]
	v_add_f64 v[134:135], v[134:135], -v[138:139]
	v_add_f64 v[138:139], v[126:127], v[130:131]
	v_add_f64 v[128:129], v[124:125], -v[128:129]
	v_add_f64 v[130:131], v[126:127], -v[130:131]
	v_add_f64 v[126:127], v[116:117], v[120:121]
	v_add_f64 v[124:125], v[118:119], v[122:123]
	v_add_f64 v[116:117], v[120:121], -v[116:117]
	v_add_f64 v[118:119], v[122:123], -v[118:119]
	v_add_f64 v[192:193], v[210:211], v[208:209]
	v_add_f64 v[194:195], v[212:213], -v[206:207]
	v_add_f64 v[188:189], v[176:177], v[172:173]
	v_add_f64 v[190:191], v[178:179], -v[216:217]
	v_add_f64 v[172:173], v[176:177], -v[172:173]
	v_add_f64 v[174:175], v[216:217], v[178:179]
	v_add_f64 v[176:177], v[210:211], -v[208:209]
	v_add_f64 v[178:179], v[206:207], v[212:213]
	v_add_f64 v[120:121], v[136:137], v[200:201]
	v_add_f64 v[206:207], v[136:137], -v[200:201]
	v_add_f64 v[122:123], v[138:139], v[198:199]
	v_add_f64 v[208:209], v[138:139], -v[198:199]
	v_add_f64 v[136:137], v[126:127], -v[136:137]
	;; [unrolled: 1-line block ×3, first 2 shown]
	v_add_f64 v[210:211], v[116:117], v[128:129]
	v_add_f64 v[212:213], v[118:119], v[130:131]
	v_add_f64 v[214:215], v[116:117], -v[128:129]
	v_add_f64 v[216:217], v[118:119], -v[130:131]
	;; [unrolled: 1-line block ×8, first 2 shown]
	v_add_f64 v[120:121], v[126:127], v[120:121]
	v_add_f64 v[122:123], v[124:125], v[122:123]
	;; [unrolled: 1-line block ×4, first 2 shown]
	v_mul_f64 v[134:135], v[198:199], s[26:27]
	v_mul_f64 v[198:199], v[136:137], s[6:7]
	;; [unrolled: 1-line block ×8, first 2 shown]
	v_add_f64 v[0:1], v[0:1], v[120:121]
	v_add_f64 v[2:3], v[2:3], v[122:123]
	v_fma_f64 v[138:139], v[138:139], s[6:7], v[134:135]
	v_fma_f64 v[198:199], v[206:207], s[14:15], -v[198:199]
	v_fma_f64 v[128:129], v[128:129], s[24:25], -v[210:211]
	v_fma_f64 v[130:131], v[130:131], s[24:25], -v[212:213]
	v_fma_f64 v[136:137], v[136:137], s[6:7], v[132:133]
	v_fma_f64 v[132:133], v[206:207], s[16:17], -v[132:133]
	v_fma_f64 v[206:207], v[116:117], s[8:9], v[210:211]
	v_fma_f64 v[116:117], v[116:117], s[18:19], v[214:215]
	v_fma_f64 v[200:201], v[208:209], s[14:15], -v[200:201]
	v_fma_f64 v[134:135], v[208:209], s[16:17], -v[134:135]
	v_fma_f64 v[120:121], v[120:121], s[20:21], v[0:1]
	v_fma_f64 v[208:209], v[118:119], s[8:9], v[212:213]
	;; [unrolled: 1-line block ×8, first 2 shown]
	v_add_f64 v[198:199], v[198:199], v[120:121]
	v_add_f64 v[136:137], v[136:137], v[120:121]
	v_fma_f64 v[208:209], v[126:127], s[2:3], v[208:209]
	v_add_f64 v[132:133], v[132:133], v[120:121]
	v_fma_f64 v[214:215], v[126:127], s[2:3], v[118:119]
	v_add_f64 v[138:139], v[138:139], v[122:123]
	v_add_f64 v[134:135], v[134:135], v[122:123]
	;; [unrolled: 1-line block ×3, first 2 shown]
	v_add_f64 v[124:125], v[198:199], -v[128:129]
	v_add_f64 v[128:129], v[198:199], v[128:129]
	v_mul_lo_u16 v198, v202, 7
	v_mov_b32_e32 v199, 4
	v_add_f64 v[116:117], v[136:137], v[208:209]
	v_add_f64 v[118:119], v[138:139], -v[206:207]
	v_add_f64 v[120:121], v[132:133], v[214:215]
	v_add_f64 v[122:123], v[134:135], -v[212:213]
	v_lshlrev_b32_sdwa v198, v199, v198 dst_sel:DWORD dst_unused:UNUSED_PAD src0_sel:DWORD src1_sel:WORD_0
	v_add_f64 v[126:127], v[210:211], v[200:201]
	v_add_f64 v[130:131], v[200:201], -v[210:211]
	v_add_f64 v[132:133], v[132:133], -v[214:215]
	v_add_f64 v[134:135], v[212:213], v[134:135]
	buffer_store_dword v198, off, s[36:39], 0 offset:2764 ; 4-byte Folded Spill
	ds_write_b128 v198, v[4:7]
	ds_write_b128 v198, v[28:31] offset:16
	ds_write_b128 v198, v[24:27] offset:32
	;; [unrolled: 1-line block ×6, first 2 shown]
	v_mul_u32_u24_e32 v4, 7, v203
	v_mov_b32_e32 v11, v205
	v_mov_b32_e32 v12, v221
	;; [unrolled: 1-line block ×3, first 2 shown]
	v_add_f64 v[136:137], v[136:137], -v[208:209]
	v_lshlrev_b32_e32 v4, 4, v4
	v_add_f64 v[138:139], v[206:207], v[138:139]
	v_mov_b32_e32 v14, v219
	v_mov_b32_e32 v209, 4
	buffer_store_dword v4, off, s[36:39], 0 offset:2756 ; 4-byte Folded Spill
	ds_write_b128 v4, v[32:35]
	ds_write_b128 v4, v[56:59] offset:16
	ds_write_b128 v4, v[52:55] offset:32
	ds_write_b128 v4, v[48:51] offset:48
	ds_write_b128 v4, v[44:47] offset:64
	ds_write_b128 v4, v[40:43] offset:80
	ds_write_b128 v4, v[36:39] offset:96
	v_mul_u32_u24_e32 v4, 7, v218
	v_lshlrev_b32_e32 v4, 4, v4
	buffer_store_dword v4, off, s[36:39], 0 offset:2748 ; 4-byte Folded Spill
	ds_write_b128 v4, v[60:63]
	ds_write_b128 v4, v[84:87] offset:16
	ds_write_b128 v4, v[80:83] offset:32
	ds_write_b128 v4, v[76:79] offset:48
	ds_write_b128 v4, v[72:75] offset:64
	ds_write_b128 v4, v[68:71] offset:80
	ds_write_b128 v4, v[64:67] offset:96
	v_mul_u32_u24_e32 v4, 7, v11
	v_lshlrev_b32_e32 v4, 4, v4
	;; [unrolled: 10-line block ×5, first 2 shown]
	buffer_store_dword v4, off, s[36:39], 0 offset:1132 ; 4-byte Folded Spill
	ds_write_b128 v4, v[0:3]
	ds_write_b128 v4, v[116:119] offset:16
	ds_write_b128 v4, v[120:123] offset:32
	;; [unrolled: 1-line block ×6, first 2 shown]
	s_waitcnt lgkmcnt(0)
	s_waitcnt_vscnt null, 0x0
	s_barrier
	buffer_gl0_inv
	ds_read_b128 v[40:43], v196
	ds_read_b128 v[192:195], v196 offset:5488
	ds_read_b128 v[188:191], v196 offset:10976
	ds_read_b128 v[184:187], v196 offset:16464
	ds_read_b128 v[180:183], v196 offset:21952
	ds_read_b128 v[176:179], v196 offset:27440
	ds_read_b128 v[172:175], v196 offset:32928
	ds_read_b128 v[210:213], v196 offset:784
	ds_read_b128 v[168:171], v196 offset:6272
	ds_read_b128 v[164:167], v196 offset:11760
	ds_read_b128 v[160:163], v196 offset:17248
	ds_read_b128 v[156:159], v196 offset:22736
	ds_read_b128 v[152:155], v196 offset:28224
	ds_read_b128 v[148:151], v196 offset:33712
	ds_read_b128 v[205:208], v196 offset:1568
	ds_read_b128 v[144:147], v196 offset:7056
	ds_read_b128 v[140:143], v196 offset:12544
	ds_read_b128 v[136:139], v196 offset:18032
	ds_read_b128 v[132:135], v196 offset:23520
	ds_read_b128 v[128:131], v196 offset:29008
	ds_read_b128 v[124:127], v196 offset:34496
	ds_read_b128 v[0:3], v196 offset:2352
	s_waitcnt lgkmcnt(0)
	buffer_store_dword v0, off, s[36:39], 0 offset:1176 ; 4-byte Folded Spill
	buffer_store_dword v1, off, s[36:39], 0 offset:1180 ; 4-byte Folded Spill
	buffer_store_dword v2, off, s[36:39], 0 offset:1184 ; 4-byte Folded Spill
	buffer_store_dword v3, off, s[36:39], 0 offset:1188 ; 4-byte Folded Spill
	ds_read_b128 v[120:123], v196 offset:7840
	ds_read_b128 v[116:119], v196 offset:13328
	ds_read_b128 v[112:115], v196 offset:18816
	ds_read_b128 v[108:111], v196 offset:24304
	ds_read_b128 v[104:107], v196 offset:29792
	ds_read_b128 v[100:103], v196 offset:35280
	ds_read_b128 v[0:3], v196 offset:3136
	s_waitcnt lgkmcnt(0)
	buffer_store_dword v0, off, s[36:39], 0 offset:1144 ; 4-byte Folded Spill
	buffer_store_dword v1, off, s[36:39], 0 offset:1148 ; 4-byte Folded Spill
	buffer_store_dword v2, off, s[36:39], 0 offset:1152 ; 4-byte Folded Spill
	buffer_store_dword v3, off, s[36:39], 0 offset:1156 ; 4-byte Folded Spill
	ds_read_b128 v[96:99], v196 offset:8624
	ds_read_b128 v[92:95], v196 offset:14112
	ds_read_b128 v[88:91], v196 offset:19600
	ds_read_b128 v[84:87], v196 offset:25088
	ds_read_b128 v[76:79], v196 offset:30576
	ds_read_b128 v[72:75], v196 offset:36064
	ds_read_b128 v[0:3], v196 offset:3920
	s_waitcnt lgkmcnt(0)
	buffer_store_dword v0, off, s[36:39], 0 offset:1020 ; 4-byte Folded Spill
	buffer_store_dword v1, off, s[36:39], 0 offset:1024 ; 4-byte Folded Spill
	buffer_store_dword v2, off, s[36:39], 0 offset:1028 ; 4-byte Folded Spill
	buffer_store_dword v3, off, s[36:39], 0 offset:1032 ; 4-byte Folded Spill
	ds_read_b128 v[68:71], v196 offset:9408
	ds_read_b128 v[64:67], v196 offset:14896
	ds_read_b128 v[60:63], v196 offset:20384
	ds_read_b128 v[56:59], v196 offset:25872
	ds_read_b128 v[52:55], v196 offset:31360
	ds_read_b128 v[48:51], v196 offset:36848
	ds_read_b128 v[0:3], v196 offset:4704
	s_waitcnt lgkmcnt(0)
	buffer_store_dword v0, off, s[36:39], 0 offset:908 ; 4-byte Folded Spill
	buffer_store_dword v1, off, s[36:39], 0 offset:912 ; 4-byte Folded Spill
	;; [unrolled: 1-line block ×4, first 2 shown]
	v_and_b32_e32 v0, 0xff, v202
	ds_read_b128 v[44:47], v196 offset:10192
	ds_read_b128 v[32:35], v196 offset:15680
	;; [unrolled: 1-line block ×6, first 2 shown]
	v_mul_lo_u16 v0, v0, 37
	v_lshrrev_b16 v0, 8, v0
	v_sub_nc_u16 v1, v202, v0
	v_lshrrev_b16 v1, 1, v1
	v_and_b32_e32 v1, 0x7f, v1
	v_add_nc_u16 v0, v1, v0
	v_lshrrev_b16 v0, 2, v0
	buffer_store_dword v0, off, s[36:39], 0 offset:940 ; 4-byte Folded Spill
	v_mul_lo_u16 v0, v0, 7
	v_sub_nc_u16 v0, v202, v0
	v_and_b32_e32 v0, 0xff, v0
	buffer_store_dword v0, off, s[36:39], 0 offset:956 ; 4-byte Folded Spill
	v_mul_u32_u24_e32 v0, 6, v0
	v_lshlrev_b32_e32 v2, 4, v0
	s_clause 0x1
	global_load_dwordx4 v[3:6], v2, s[10:11] offset:48
	global_load_dwordx4 v[7:10], v2, s[10:11] offset:32
	s_waitcnt vmcnt(0)
	buffer_store_dword v7, off, s[36:39], 0 offset:1592 ; 4-byte Folded Spill
	buffer_store_dword v8, off, s[36:39], 0 offset:1596 ; 4-byte Folded Spill
	;; [unrolled: 1-line block ×4, first 2 shown]
	s_clause 0x1
	global_load_dwordx4 v[198:201], v2, s[10:11] offset:16
	global_load_dwordx4 v[36:39], v2, s[10:11]
	s_waitcnt vmcnt(0)
	buffer_store_dword v36, off, s[36:39], 0 offset:1544 ; 4-byte Folded Spill
	buffer_store_dword v37, off, s[36:39], 0 offset:1548 ; 4-byte Folded Spill
	;; [unrolled: 1-line block ×12, first 2 shown]
	v_mul_f64 v[0:1], v[194:195], v[38:39]
	v_fma_f64 v[246:247], v[192:193], v[36:37], -v[0:1]
	v_mul_f64 v[0:1], v[192:193], v[38:39]
	v_and_b32_e32 v38, 0xff, v203
	v_mul_lo_u16 v38, v38, 37
	v_lshrrev_b16 v38, 8, v38
	v_sub_nc_u16 v39, v203, v38
	v_lshrrev_b16 v39, 1, v39
	v_fma_f64 v[80:81], v[194:195], v[36:37], v[0:1]
	v_mul_f64 v[0:1], v[190:191], v[200:201]
	v_and_b32_e32 v39, 0x7f, v39
	v_add_nc_u16 v38, v39, v38
	v_fma_f64 v[248:249], v[188:189], v[198:199], -v[0:1]
	v_mul_f64 v[0:1], v[188:189], v[200:201]
	v_fma_f64 v[254:255], v[190:191], v[198:199], v[0:1]
	v_mul_f64 v[0:1], v[186:187], v[9:10]
	v_fma_f64 v[250:251], v[184:185], v[7:8], -v[0:1]
	v_mul_f64 v[0:1], v[184:185], v[9:10]
	v_lshrrev_b16 v10, 2, v38
	v_mul_lo_u16 v38, v10, 7
	v_sub_nc_u16 v38, v203, v38
	v_fma_f64 v[252:253], v[186:187], v[7:8], v[0:1]
	v_mul_f64 v[0:1], v[182:183], v[5:6]
	v_fma_f64 v[8:9], v[180:181], v[3:4], -v[0:1]
	v_mul_f64 v[0:1], v[180:181], v[5:6]
	v_fma_f64 v[36:37], v[182:183], v[3:4], v[0:1]
	global_load_dwordx4 v[180:183], v2, s[10:11] offset:80
	s_waitcnt vmcnt(0)
	buffer_store_dword v180, off, s[36:39], 0 offset:1644 ; 4-byte Folded Spill
	buffer_store_dword v181, off, s[36:39], 0 offset:1648 ; 4-byte Folded Spill
	;; [unrolled: 1-line block ×4, first 2 shown]
	global_load_dwordx4 v[184:187], v2, s[10:11] offset:64
	s_waitcnt vmcnt(0)
	buffer_store_dword v184, off, s[36:39], 0 offset:1628 ; 4-byte Folded Spill
	buffer_store_dword v185, off, s[36:39], 0 offset:1632 ; 4-byte Folded Spill
	;; [unrolled: 1-line block ×5, first 2 shown]
	v_and_b32_e32 v10, 0xff, v38
	buffer_store_dword v203, off, s[36:39], 0 offset:924 ; 4-byte Folded Spill
	v_mul_u32_u24_e32 v38, 6, v10
	buffer_store_dword v10, off, s[36:39], 0 offset:1004 ; 4-byte Folded Spill
	v_and_b32_e32 v10, 0xff, v218
	v_mul_f64 v[0:1], v[178:179], v[186:187]
	v_fma_f64 v[6:7], v[176:177], v[184:185], -v[0:1]
	v_mul_f64 v[0:1], v[176:177], v[186:187]
	v_fma_f64 v[4:5], v[178:179], v[184:185], v[0:1]
	v_mul_f64 v[0:1], v[174:175], v[182:183]
	v_fma_f64 v[2:3], v[172:173], v[180:181], -v[0:1]
	v_mul_f64 v[0:1], v[172:173], v[182:183]
	v_lshlrev_b32_e32 v172, 4, v38
	v_fma_f64 v[0:1], v[174:175], v[180:181], v[0:1]
	s_clause 0x1
	global_load_dwordx4 v[173:176], v172, s[10:11] offset:48
	global_load_dwordx4 v[177:180], v172, s[10:11] offset:32
	s_waitcnt vmcnt(0)
	buffer_store_dword v177, off, s[36:39], 0 offset:1856 ; 4-byte Folded Spill
	buffer_store_dword v178, off, s[36:39], 0 offset:1860 ; 4-byte Folded Spill
	;; [unrolled: 1-line block ×4, first 2 shown]
	s_clause 0x1
	global_load_dwordx4 v[181:184], v172, s[10:11] offset:16
	global_load_dwordx4 v[185:188], v172, s[10:11]
	s_waitcnt vmcnt(0)
	buffer_store_dword v185, off, s[36:39], 0 offset:1824 ; 4-byte Folded Spill
	buffer_store_dword v186, off, s[36:39], 0 offset:1828 ; 4-byte Folded Spill
	;; [unrolled: 1-line block ×12, first 2 shown]
	v_mul_f64 v[38:39], v[170:171], v[187:188]
	v_fma_f64 v[228:229], v[168:169], v[185:186], -v[38:39]
	v_mul_f64 v[38:39], v[168:169], v[187:188]
	v_fma_f64 v[232:233], v[170:171], v[185:186], v[38:39]
	v_mul_f64 v[38:39], v[166:167], v[183:184]
	v_fma_f64 v[226:227], v[164:165], v[181:182], -v[38:39]
	v_mul_f64 v[38:39], v[164:165], v[183:184]
	v_fma_f64 v[230:231], v[166:167], v[181:182], v[38:39]
	;; [unrolled: 4-line block ×4, first 2 shown]
	global_load_dwordx4 v[156:159], v172, s[10:11] offset:80
	s_waitcnt vmcnt(0)
	buffer_store_dword v156, off, s[36:39], 0 offset:1940 ; 4-byte Folded Spill
	buffer_store_dword v157, off, s[36:39], 0 offset:1944 ; 4-byte Folded Spill
	;; [unrolled: 1-line block ×4, first 2 shown]
	global_load_dwordx4 v[160:163], v172, s[10:11] offset:64
	s_waitcnt vmcnt(0)
	buffer_store_dword v160, off, s[36:39], 0 offset:1924 ; 4-byte Folded Spill
	buffer_store_dword v161, off, s[36:39], 0 offset:1928 ; 4-byte Folded Spill
	;; [unrolled: 1-line block ×6, first 2 shown]
	v_mul_f64 v[38:39], v[154:155], v[162:163]
	v_fma_f64 v[238:239], v[152:153], v[160:161], -v[38:39]
	v_mul_f64 v[38:39], v[152:153], v[162:163]
	v_fma_f64 v[240:241], v[154:155], v[160:161], v[38:39]
	v_mul_f64 v[38:39], v[150:151], v[158:159]
	v_fma_f64 v[242:243], v[148:149], v[156:157], -v[38:39]
	v_mul_f64 v[38:39], v[148:149], v[158:159]
	v_fma_f64 v[244:245], v[150:151], v[156:157], v[38:39]
	v_mul_lo_u16 v38, v10, 37
	v_lshrrev_b16 v38, 8, v38
	v_sub_nc_u16 v39, v218, v38
	v_lshrrev_b16 v39, 1, v39
	v_and_b32_e32 v39, 0x7f, v39
	v_add_nc_u16 v38, v39, v38
	v_lshrrev_b16 v10, 2, v38
	v_mul_lo_u16 v38, v10, 7
	buffer_store_dword v10, off, s[36:39], 0 offset:1036 ; 4-byte Folded Spill
	v_sub_nc_u16 v38, v218, v38
	v_and_b32_e32 v10, 0xff, v38
	v_mul_u32_u24_e32 v38, 6, v10
	buffer_store_dword v10, off, s[36:39], 0 offset:1052 ; 4-byte Folded Spill
	v_and_b32_e32 v10, 0xff, v11
	v_lshlrev_b32_e32 v148, 4, v38
	s_clause 0x2
	global_load_dwordx4 v[149:152], v148, s[10:11] offset:48
	global_load_dwordx4 v[153:156], v148, s[10:11] offset:32
	;; [unrolled: 1-line block ×3, first 2 shown]
	s_waitcnt vmcnt(0)
	buffer_store_dword v157, off, s[36:39], 0 offset:2132 ; 4-byte Folded Spill
	buffer_store_dword v158, off, s[36:39], 0 offset:2136 ; 4-byte Folded Spill
	buffer_store_dword v159, off, s[36:39], 0 offset:2140 ; 4-byte Folded Spill
	buffer_store_dword v160, off, s[36:39], 0 offset:2144 ; 4-byte Folded Spill
	global_load_dwordx4 v[161:164], v148, s[10:11]
	s_waitcnt vmcnt(0)
	buffer_store_dword v161, off, s[36:39], 0 offset:2116 ; 4-byte Folded Spill
	buffer_store_dword v162, off, s[36:39], 0 offset:2120 ; 4-byte Folded Spill
	;; [unrolled: 1-line block ×12, first 2 shown]
	v_mul_f64 v[38:39], v[146:147], v[163:164]
	v_fma_f64 v[165:166], v[144:145], v[161:162], -v[38:39]
	v_mul_f64 v[38:39], v[144:145], v[163:164]
	v_fma_f64 v[161:162], v[146:147], v[161:162], v[38:39]
	v_mul_f64 v[38:39], v[142:143], v[159:160]
	v_fma_f64 v[200:201], v[140:141], v[157:158], -v[38:39]
	v_mul_f64 v[38:39], v[140:141], v[159:160]
	v_mul_f64 v[140:141], v[138:139], v[155:156]
	v_fma_f64 v[38:39], v[142:143], v[157:158], v[38:39]
	v_fma_f64 v[198:199], v[136:137], v[153:154], -v[140:141]
	v_mul_f64 v[136:137], v[136:137], v[155:156]
	v_fma_f64 v[202:203], v[138:139], v[153:154], v[136:137]
	v_mul_f64 v[136:137], v[134:135], v[151:152]
	v_fma_f64 v[82:83], v[132:133], v[149:150], -v[136:137]
	v_mul_f64 v[132:133], v[132:133], v[151:152]
	v_fma_f64 v[149:150], v[134:135], v[149:150], v[132:133]
	s_clause 0x1
	global_load_dwordx4 v[134:137], v148, s[10:11] offset:80
	global_load_dwordx4 v[138:141], v148, s[10:11] offset:64
	s_waitcnt vmcnt(0)
	v_mul_f64 v[132:133], v[130:131], v[140:141]
	v_fma_f64 v[214:215], v[128:129], v[138:139], -v[132:133]
	buffer_store_dword v138, off, s[36:39], 0 offset:2212 ; 4-byte Folded Spill
	buffer_store_dword v139, off, s[36:39], 0 offset:2216 ; 4-byte Folded Spill
	;; [unrolled: 1-line block ×10, first 2 shown]
	v_mul_f64 v[128:129], v[128:129], v[140:141]
	v_fma_f64 v[216:217], v[130:131], v[138:139], v[128:129]
	v_mul_f64 v[128:129], v[126:127], v[136:137]
	v_fma_f64 v[218:219], v[124:125], v[134:135], -v[128:129]
	v_mul_f64 v[124:125], v[124:125], v[136:137]
	v_fma_f64 v[220:221], v[126:127], v[134:135], v[124:125]
	v_mul_lo_u16 v124, v10, 37
	v_lshrrev_b16 v124, 8, v124
	v_sub_nc_u16 v125, v11, v124
	v_lshrrev_b16 v125, 1, v125
	v_and_b32_e32 v125, 0x7f, v125
	v_add_nc_u16 v124, v125, v124
	v_lshrrev_b16 v10, 2, v124
	v_mul_lo_u16 v124, v10, 7
	buffer_store_dword v10, off, s[36:39], 0 offset:1068 ; 4-byte Folded Spill
	v_sub_nc_u16 v124, v11, v124
	v_and_b32_e32 v10, 0xff, v124
	v_mul_u32_u24_e32 v124, 6, v10
	buffer_store_dword v10, off, s[36:39], 0 offset:1084 ; 4-byte Folded Spill
	v_and_b32_e32 v10, 0xff, v12
	v_lshlrev_b32_e32 v126, 4, v124
	s_clause 0x3
	global_load_dwordx4 v[127:130], v126, s[10:11] offset:48
	global_load_dwordx4 v[131:134], v126, s[10:11] offset:32
	global_load_dwordx4 v[135:138], v126, s[10:11] offset:16
	global_load_dwordx4 v[139:142], v126, s[10:11]
	s_waitcnt vmcnt(0)
	v_mul_f64 v[124:125], v[122:123], v[141:142]
	v_fma_f64 v[124:125], v[120:121], v[139:140], -v[124:125]
	buffer_store_dword v139, off, s[36:39], 0 offset:2312 ; 4-byte Folded Spill
	buffer_store_dword v140, off, s[36:39], 0 offset:2316 ; 4-byte Folded Spill
	;; [unrolled: 1-line block ×16, first 2 shown]
	v_mul_f64 v[120:121], v[120:121], v[141:142]
	v_fma_f64 v[122:123], v[122:123], v[139:140], v[120:121]
	v_mul_f64 v[120:121], v[118:119], v[137:138]
	v_fma_f64 v[120:121], v[116:117], v[135:136], -v[120:121]
	v_mul_f64 v[116:117], v[116:117], v[137:138]
	v_fma_f64 v[118:119], v[118:119], v[135:136], v[116:117]
	v_mul_f64 v[116:117], v[114:115], v[133:134]
	v_fma_f64 v[116:117], v[112:113], v[131:132], -v[116:117]
	;; [unrolled: 4-line block ×3, first 2 shown]
	v_mul_f64 v[108:109], v[108:109], v[129:130]
	v_fma_f64 v[108:109], v[110:111], v[127:128], v[108:109]
	s_clause 0x1
	global_load_dwordx4 v[127:130], v126, s[10:11] offset:80
	global_load_dwordx4 v[131:134], v126, s[10:11] offset:64
	s_waitcnt vmcnt(0)
	buffer_store_dword v131, off, s[36:39], 0 offset:2412 ; 4-byte Folded Spill
	buffer_store_dword v132, off, s[36:39], 0 offset:2416 ; 4-byte Folded Spill
	;; [unrolled: 1-line block ×10, first 2 shown]
	v_mul_f64 v[110:111], v[106:107], v[133:134]
	v_fma_f64 v[110:111], v[104:105], v[131:132], -v[110:111]
	v_mul_f64 v[104:105], v[104:105], v[133:134]
	v_fma_f64 v[104:105], v[106:107], v[131:132], v[104:105]
	v_mul_f64 v[106:107], v[102:103], v[129:130]
	v_fma_f64 v[106:107], v[100:101], v[127:128], -v[106:107]
	v_mul_f64 v[100:101], v[100:101], v[129:130]
	v_fma_f64 v[100:101], v[102:103], v[127:128], v[100:101]
	v_mul_lo_u16 v102, v10, 37
	v_lshrrev_b16 v102, 8, v102
	v_sub_nc_u16 v103, v12, v102
	v_lshrrev_b16 v103, 1, v103
	v_and_b32_e32 v103, 0x7f, v103
	v_add_nc_u16 v102, v103, v102
	v_lshrrev_b16 v10, 2, v102
	v_mul_lo_u16 v102, v10, 7
	buffer_store_dword v10, off, s[36:39], 0 offset:1100 ; 4-byte Folded Spill
	v_sub_nc_u16 v102, v12, v102
	v_and_b32_e32 v10, 0xff, v102
	v_mul_u32_u24_e32 v102, 6, v10
	buffer_store_dword v10, off, s[36:39], 0 offset:1116 ; 4-byte Folded Spill
	v_mov_b32_e32 v10, v15
	v_lshlrev_b32_e32 v140, 4, v102
	s_clause 0x3
	global_load_dwordx4 v[136:139], v140, s[10:11] offset:48
	global_load_dwordx4 v[141:144], v140, s[10:11] offset:32
	;; [unrolled: 1-line block ×3, first 2 shown]
	global_load_dwordx4 v[145:148], v140, s[10:11]
	s_waitcnt vmcnt(1)
	v_mov_b32_e32 v131, v129
	s_waitcnt vmcnt(0)
	v_mul_f64 v[102:103], v[98:99], v[147:148]
	v_mov_b32_e32 v130, v128
	v_mov_b32_e32 v129, v127
	;; [unrolled: 1-line block ×3, first 2 shown]
	v_fma_f64 v[132:133], v[96:97], v[145:146], -v[102:103]
	buffer_store_dword v145, off, s[36:39], 0 offset:2448 ; 4-byte Folded Spill
	buffer_store_dword v146, off, s[36:39], 0 offset:2452 ; 4-byte Folded Spill
	;; [unrolled: 1-line block ×12, first 2 shown]
	v_mul_f64 v[96:97], v[96:97], v[147:148]
	v_fma_f64 v[134:135], v[98:99], v[145:146], v[96:97]
	v_mul_f64 v[96:97], v[94:95], v[130:131]
	v_fma_f64 v[126:127], v[92:93], v[128:129], -v[96:97]
	v_mul_f64 v[92:93], v[92:93], v[130:131]
	v_fma_f64 v[130:131], v[94:95], v[128:129], v[92:93]
	v_mul_f64 v[92:93], v[90:91], v[143:144]
	v_fma_f64 v[153:154], v[88:89], v[141:142], -v[92:93]
	v_mul_f64 v[88:89], v[88:89], v[143:144]
	v_fma_f64 v[128:129], v[90:91], v[141:142], v[88:89]
	v_mov_b32_e32 v90, v136
	v_mov_b32_e32 v91, v137
	v_mov_b32_e32 v92, v138
	v_mov_b32_e32 v93, v139
	buffer_store_dword v90, off, s[36:39], 0 offset:2496 ; 4-byte Folded Spill
	buffer_store_dword v91, off, s[36:39], 0 offset:2500 ; 4-byte Folded Spill
	;; [unrolled: 1-line block ×4, first 2 shown]
	v_mul_f64 v[88:89], v[86:87], v[92:93]
	v_fma_f64 v[136:137], v[84:85], v[90:91], -v[88:89]
	v_mul_f64 v[84:85], v[84:85], v[92:93]
	v_fma_f64 v[138:139], v[86:87], v[90:91], v[84:85]
	s_clause 0x1
	global_load_dwordx4 v[86:89], v140, s[10:11] offset:80
	global_load_dwordx4 v[90:93], v140, s[10:11] offset:64
	s_waitcnt vmcnt(0)
	v_mul_f64 v[84:85], v[78:79], v[92:93]
	v_fma_f64 v[140:141], v[76:77], v[90:91], -v[84:85]
	buffer_store_dword v90, off, s[36:39], 0 offset:2512 ; 4-byte Folded Spill
	buffer_store_dword v91, off, s[36:39], 0 offset:2516 ; 4-byte Folded Spill
	;; [unrolled: 1-line block ×9, first 2 shown]
	v_mul_f64 v[76:77], v[76:77], v[92:93]
	v_fma_f64 v[142:143], v[78:79], v[90:91], v[76:77]
	v_mul_f64 v[76:77], v[74:75], v[88:89]
	v_fma_f64 v[144:145], v[72:73], v[86:87], -v[76:77]
	v_mul_f64 v[72:73], v[72:73], v[88:89]
	v_fma_f64 v[146:147], v[74:75], v[86:87], v[72:73]
	v_mov_b32_e32 v74, 0x2493
	v_mul_u32_u24_sdwa v72, v10, v74 dst_sel:DWORD dst_unused:UNUSED_PAD src0_sel:WORD_0 src1_sel:DWORD
	v_lshrrev_b32_e32 v72, 16, v72
	v_sub_nc_u16 v73, v10, v72
	v_lshrrev_b16 v73, 1, v73
	v_add_nc_u16 v72, v73, v72
	v_lshrrev_b16 v11, 2, v72
	v_mul_lo_u16 v72, v11, 7
	buffer_store_dword v11, off, s[36:39], 0 offset:1136 ; 4-byte Folded Spill
	v_sub_nc_u16 v172, v10, v72
	v_mov_b32_e32 v10, v14
	v_mul_lo_u16 v72, v172, 6
	v_lshlrev_b32_sdwa v75, v209, v72 dst_sel:DWORD dst_unused:UNUSED_PAD src0_sel:DWORD src1_sel:WORD_0
	s_clause 0x3
	global_load_dwordx4 v[76:79], v75, s[10:11] offset:48
	global_load_dwordx4 v[84:87], v75, s[10:11] offset:32
	;; [unrolled: 1-line block ×3, first 2 shown]
	global_load_dwordx4 v[92:95], v75, s[10:11]
	s_waitcnt vmcnt(0)
	v_mul_f64 v[72:73], v[70:71], v[94:95]
	v_fma_f64 v[173:174], v[68:69], v[92:93], -v[72:73]
	buffer_store_dword v92, off, s[36:39], 0 offset:2544 ; 4-byte Folded Spill
	buffer_store_dword v93, off, s[36:39], 0 offset:2548 ; 4-byte Folded Spill
	;; [unrolled: 1-line block ×16, first 2 shown]
	v_add_f64 v[72:73], v[149:150], -v[202:203]
	v_mul_f64 v[68:69], v[68:69], v[94:95]
	v_fma_f64 v[158:159], v[70:71], v[92:93], v[68:69]
	v_mul_f64 v[68:69], v[66:67], v[90:91]
	v_fma_f64 v[183:184], v[64:65], v[88:89], -v[68:69]
	v_mul_f64 v[64:65], v[64:65], v[90:91]
	v_fma_f64 v[177:178], v[66:67], v[88:89], v[64:65]
	v_mul_f64 v[64:65], v[62:63], v[86:87]
	v_fma_f64 v[181:182], v[60:61], v[84:85], -v[64:65]
	;; [unrolled: 4-line block ×3, first 2 shown]
	v_mul_f64 v[56:57], v[56:57], v[78:79]
	v_fma_f64 v[179:180], v[58:59], v[76:77], v[56:57]
	s_clause 0x1
	global_load_dwordx4 v[58:61], v75, s[10:11] offset:80
	global_load_dwordx4 v[62:65], v75, s[10:11] offset:64
	s_waitcnt vmcnt(0)
	buffer_store_dword v62, off, s[36:39], 0 offset:2608 ; 4-byte Folded Spill
	buffer_store_dword v63, off, s[36:39], 0 offset:2612 ; 4-byte Folded Spill
	;; [unrolled: 1-line block ×9, first 2 shown]
	v_mul_f64 v[56:57], v[54:55], v[64:65]
	v_fma_f64 v[151:152], v[52:53], v[62:63], -v[56:57]
	v_mul_f64 v[52:53], v[52:53], v[64:65]
	v_fma_f64 v[155:156], v[54:55], v[62:63], v[52:53]
	v_mul_f64 v[52:53], v[50:51], v[60:61]
	v_fma_f64 v[168:169], v[48:49], v[58:59], -v[52:53]
	v_mul_f64 v[48:49], v[48:49], v[60:61]
	v_fma_f64 v[170:171], v[50:51], v[58:59], v[48:49]
	v_mul_u32_u24_sdwa v48, v10, v74 dst_sel:DWORD dst_unused:UNUSED_PAD src0_sel:WORD_0 src1_sel:DWORD
	v_lshrrev_b32_e32 v48, 16, v48
	v_sub_nc_u16 v49, v10, v48
	v_lshrrev_b16 v49, 1, v49
	v_add_nc_u16 v48, v49, v48
	v_lshrrev_b16 v11, 2, v48
	v_mul_lo_u16 v48, v11, 7
	buffer_store_dword v11, off, s[36:39], 0 offset:1160 ; 4-byte Folded Spill
	v_sub_nc_u16 v48, v10, v48
	v_mul_lo_u16 v49, v48, 6
	v_lshlrev_b32_sdwa v51, v209, v49 dst_sel:DWORD dst_unused:UNUSED_PAD src0_sel:DWORD src1_sel:WORD_0
	s_clause 0x3
	global_load_dwordx4 v[52:55], v51, s[10:11] offset:48
	global_load_dwordx4 v[56:59], v51, s[10:11] offset:32
	;; [unrolled: 1-line block ×3, first 2 shown]
	global_load_dwordx4 v[64:67], v51, s[10:11]
	s_waitcnt vmcnt(0) lgkmcnt(5)
	v_mul_f64 v[49:50], v[46:47], v[66:67]
	v_fma_f64 v[10:11], v[44:45], v[64:65], -v[49:50]
	buffer_store_dword v10, off, s[36:39], 0 offset:1288 ; 4-byte Folded Spill
	buffer_store_dword v11, off, s[36:39], 0 offset:1292 ; 4-byte Folded Spill
	;; [unrolled: 1-line block ×10, first 2 shown]
	v_mul_f64 v[44:45], v[44:45], v[66:67]
	v_fma_f64 v[186:187], v[46:47], v[64:65], v[44:45]
	s_waitcnt lgkmcnt(4)
	v_mul_f64 v[44:45], v[34:35], v[62:63]
	v_fma_f64 v[10:11], v[32:33], v[60:61], -v[44:45]
	v_mul_f64 v[32:33], v[32:33], v[62:63]
	buffer_store_dword v10, off, s[36:39], 0 offset:1224 ; 4-byte Folded Spill
	buffer_store_dword v11, off, s[36:39], 0 offset:1228 ; 4-byte Folded Spill
	v_fma_f64 v[10:11], v[34:35], v[60:61], v[32:33]
	buffer_store_dword v10, off, s[36:39], 0 offset:1240 ; 4-byte Folded Spill
	buffer_store_dword v11, off, s[36:39], 0 offset:1244 ; 4-byte Folded Spill
	;; [unrolled: 1-line block ×6, first 2 shown]
	s_waitcnt lgkmcnt(3)
	v_mul_f64 v[32:33], v[30:31], v[58:59]
	v_fma_f64 v[10:11], v[28:29], v[56:57], -v[32:33]
	v_mul_f64 v[28:29], v[28:29], v[58:59]
	buffer_store_dword v10, off, s[36:39], 0 offset:1192 ; 4-byte Folded Spill
	buffer_store_dword v11, off, s[36:39], 0 offset:1196 ; 4-byte Folded Spill
	v_fma_f64 v[10:11], v[30:31], v[56:57], v[28:29]
	buffer_store_dword v10, off, s[36:39], 0 offset:1208 ; 4-byte Folded Spill
	buffer_store_dword v11, off, s[36:39], 0 offset:1212 ; 4-byte Folded Spill
	;; [unrolled: 1-line block ×6, first 2 shown]
	s_waitcnt lgkmcnt(2)
	v_mul_f64 v[28:29], v[26:27], v[54:55]
	v_fma_f64 v[10:11], v[24:25], v[52:53], -v[28:29]
	v_mul_f64 v[24:25], v[24:25], v[54:55]
	buffer_store_dword v10, off, s[36:39], 0 offset:1256 ; 4-byte Folded Spill
	buffer_store_dword v11, off, s[36:39], 0 offset:1260 ; 4-byte Folded Spill
	v_fma_f64 v[10:11], v[26:27], v[52:53], v[24:25]
	buffer_store_dword v10, off, s[36:39], 0 offset:1272 ; 4-byte Folded Spill
	buffer_store_dword v11, off, s[36:39], 0 offset:1276 ; 4-byte Folded Spill
	s_clause 0x1
	global_load_dwordx4 v[26:29], v51, s[10:11] offset:80
	global_load_dwordx4 v[30:33], v51, s[10:11] offset:64
	v_add_f64 v[10:11], v[246:247], -v[2:3]
	v_add_f64 v[53:54], v[236:237], -v[224:225]
	s_waitcnt vmcnt(0) lgkmcnt(1)
	v_mul_f64 v[24:25], v[22:23], v[32:33]
	v_fma_f64 v[188:189], v[20:21], v[30:31], -v[24:25]
	buffer_store_dword v30, off, s[36:39], 0 offset:2712 ; 4-byte Folded Spill
	buffer_store_dword v31, off, s[36:39], 0 offset:2716 ; 4-byte Folded Spill
	;; [unrolled: 1-line block ×8, first 2 shown]
	v_add_f64 v[24:25], v[250:251], v[8:9]
	v_add_f64 v[8:9], v[8:9], -v[250:251]
	v_mul_f64 v[20:21], v[20:21], v[32:33]
	v_fma_f64 v[190:191], v[22:23], v[30:31], v[20:21]
	s_waitcnt lgkmcnt(0)
	v_mul_f64 v[20:21], v[18:19], v[28:29]
	v_add_f64 v[22:23], v[254:255], v[4:5]
	v_fma_f64 v[192:193], v[16:17], v[26:27], -v[20:21]
	v_mul_f64 v[16:17], v[16:17], v[28:29]
	v_add_f64 v[20:21], v[248:249], v[6:7]
	v_add_f64 v[6:7], v[248:249], -v[6:7]
	v_fma_f64 v[194:195], v[18:19], v[26:27], v[16:17]
	v_add_f64 v[16:17], v[246:247], v[2:3]
	v_add_f64 v[18:19], v[80:81], v[0:1]
	v_add_f64 v[0:1], v[80:81], -v[0:1]
	v_add_f64 v[2:3], v[254:255], -v[4:5]
	v_add_f64 v[26:27], v[252:253], v[36:37]
	v_add_f64 v[4:5], v[36:37], -v[252:253]
	v_add_f64 v[36:37], v[8:9], v[6:7]
	v_add_f64 v[46:47], v[8:9], -v[6:7]
	v_add_f64 v[6:7], v[6:7], -v[10:11]
	;; [unrolled: 1-line block ×3, first 2 shown]
	v_add_f64 v[28:29], v[20:21], v[16:17]
	v_add_f64 v[30:31], v[22:23], v[18:19]
	v_add_f64 v[32:33], v[20:21], -v[16:17]
	v_add_f64 v[34:35], v[22:23], -v[18:19]
	v_add_f64 v[16:17], v[16:17], -v[24:25]
	v_add_f64 v[18:19], v[18:19], -v[26:27]
	v_add_f64 v[20:21], v[24:25], -v[20:21]
	v_add_f64 v[22:23], v[26:27], -v[22:23]
	v_add_f64 v[44:45], v[4:5], v[2:3]
	v_add_f64 v[49:50], v[4:5], -v[2:3]
	v_add_f64 v[2:3], v[2:3], -v[0:1]
	;; [unrolled: 1-line block ×3, first 2 shown]
	v_add_f64 v[10:11], v[36:37], v[10:11]
	v_mul_f64 v[36:37], v[6:7], s[4:5]
	v_add_f64 v[24:25], v[24:25], v[28:29]
	v_add_f64 v[26:27], v[26:27], v[30:31]
	v_mul_f64 v[28:29], v[46:47], s[22:23]
	v_mul_f64 v[12:13], v[16:17], s[26:27]
	;; [unrolled: 1-line block ×5, first 2 shown]
	v_add_f64 v[0:1], v[44:45], v[0:1]
	v_mul_f64 v[30:31], v[49:50], s[22:23]
	v_mul_f64 v[44:45], v[2:3], s[4:5]
	v_add_f64 v[96:97], v[40:41], v[24:25]
	v_add_f64 v[98:99], v[42:43], v[26:27]
	v_fma_f64 v[6:7], v[6:7], s[24:25], -v[28:29]
	v_fma_f64 v[20:21], v[20:21], s[6:7], v[12:13]
	v_fma_f64 v[22:23], v[22:23], s[6:7], v[14:15]
	v_fma_f64 v[16:17], v[32:33], s[14:15], -v[16:17]
	v_fma_f64 v[18:19], v[34:35], s[14:15], -v[18:19]
	;; [unrolled: 1-line block ×4, first 2 shown]
	v_fma_f64 v[32:33], v[8:9], s[8:9], v[28:29]
	v_fma_f64 v[34:35], v[4:5], s[8:9], v[30:31]
	v_fma_f64 v[2:3], v[2:3], s[24:25], -v[30:31]
	v_fma_f64 v[8:9], v[8:9], s[18:19], v[36:37]
	v_fma_f64 v[4:5], v[4:5], s[18:19], v[44:45]
	;; [unrolled: 1-line block ×10, first 2 shown]
	v_add_f64 v[10:11], v[230:231], v[240:241]
	v_add_f64 v[4:5], v[228:229], -v[242:243]
	v_add_f64 v[28:29], v[16:17], v[24:25]
	v_add_f64 v[30:31], v[18:19], v[26:27]
	;; [unrolled: 1-line block ×6, first 2 shown]
	v_add_f64 v[20:21], v[28:29], -v[2:3]
	v_add_f64 v[22:23], v[6:7], v[30:31]
	v_add_f64 v[12:13], v[0:1], v[46:47]
	v_add_f64 v[14:15], v[49:50], -v[8:9]
	v_add_f64 v[24:25], v[2:3], v[28:29]
	v_add_f64 v[26:27], v[30:31], -v[6:7]
	v_add_f64 v[28:29], v[46:47], -v[0:1]
	v_add_f64 v[30:31], v[8:9], v[49:50]
	v_add_f64 v[0:1], v[228:229], v[242:243]
	;; [unrolled: 1-line block ×5, first 2 shown]
	v_add_f64 v[18:19], v[44:45], -v[51:52]
	v_add_f64 v[32:33], v[36:37], -v[32:33]
	v_add_f64 v[34:35], v[51:52], v[44:45]
	v_add_f64 v[6:7], v[232:233], -v[244:245]
	v_add_f64 v[36:37], v[226:227], -v[238:239]
	;; [unrolled: 1-line block ×3, first 2 shown]
	v_add_f64 v[46:47], v[222:223], v[234:235]
	v_add_f64 v[49:50], v[224:225], v[236:237]
	v_add_f64 v[51:52], v[234:235], -v[222:223]
	v_add_f64 v[57:58], v[10:11], v[2:3]
	v_add_f64 v[55:56], v[8:9], v[0:1]
	v_add_f64 v[59:60], v[8:9], -v[0:1]
	v_add_f64 v[61:62], v[10:11], -v[2:3]
	v_add_f64 v[65:66], v[53:54], v[44:45]
	v_add_f64 v[0:1], v[0:1], -v[46:47]
	v_add_f64 v[2:3], v[2:3], -v[49:50]
	;; [unrolled: 1-line block ×4, first 2 shown]
	v_add_f64 v[63:64], v[51:52], v[36:37]
	v_add_f64 v[67:68], v[51:52], -v[36:37]
	v_add_f64 v[69:70], v[53:54], -v[44:45]
	;; [unrolled: 1-line block ×6, first 2 shown]
	v_add_f64 v[49:50], v[49:50], v[57:58]
	v_add_f64 v[46:47], v[46:47], v[55:56]
	;; [unrolled: 1-line block ×3, first 2 shown]
	v_mul_f64 v[0:1], v[0:1], s[26:27]
	v_mul_f64 v[2:3], v[2:3], s[26:27]
	;; [unrolled: 1-line block ×4, first 2 shown]
	v_add_f64 v[4:5], v[63:64], v[4:5]
	v_mul_f64 v[63:64], v[67:68], s[22:23]
	v_mul_f64 v[65:66], v[69:70], s[22:23]
	;; [unrolled: 1-line block ×4, first 2 shown]
	v_add_f64 v[42:43], v[212:213], v[49:50]
	v_add_f64 v[40:41], v[210:211], v[46:47]
	v_fma_f64 v[8:9], v[8:9], s[6:7], v[0:1]
	v_fma_f64 v[10:11], v[10:11], s[6:7], v[2:3]
	v_fma_f64 v[55:56], v[59:60], s[14:15], -v[55:56]
	v_fma_f64 v[57:58], v[61:62], s[14:15], -v[57:58]
	;; [unrolled: 1-line block ×4, first 2 shown]
	v_fma_f64 v[59:60], v[51:52], s[8:9], v[63:64]
	v_fma_f64 v[61:62], v[53:54], s[8:9], v[65:66]
	v_fma_f64 v[36:37], v[36:37], s[24:25], -v[63:64]
	v_fma_f64 v[44:45], v[44:45], s[24:25], -v[65:66]
	v_fma_f64 v[51:52], v[51:52], s[18:19], v[67:68]
	v_fma_f64 v[53:54], v[53:54], s[18:19], v[69:70]
	v_add_f64 v[70:71], v[82:83], -v[198:199]
	v_fma_f64 v[49:50], v[49:50], s[20:21], v[42:43]
	v_fma_f64 v[46:47], v[46:47], s[20:21], v[40:41]
	;; [unrolled: 1-line block ×4, first 2 shown]
	v_add_f64 v[10:11], v[10:11], v[49:50]
	v_add_f64 v[8:9], v[8:9], v[46:47]
	;; [unrolled: 1-line block ×6, first 2 shown]
	v_fma_f64 v[49:50], v[4:5], s[2:3], v[59:60]
	v_fma_f64 v[56:57], v[6:7], s[2:3], v[44:45]
	;; [unrolled: 1-line block ×4, first 2 shown]
	v_add_f64 v[222:223], v[67:68], v[8:9]
	v_add_f64 v[54:55], v[36:37], v[65:66]
	v_add_f64 v[58:59], v[65:66], -v[36:37]
	v_add_f64 v[36:37], v[200:201], -v[214:215]
	;; [unrolled: 1-line block ×5, first 2 shown]
	v_add_f64 v[44:45], v[6:7], v[0:1]
	v_add_f64 v[56:57], v[56:57], v[63:64]
	v_add_f64 v[60:61], v[0:1], -v[6:7]
	v_add_f64 v[62:63], v[4:5], v[2:3]
	v_add_f64 v[64:65], v[8:9], -v[67:68]
	v_add_f64 v[66:67], v[49:50], v[10:11]
	v_add_f64 v[0:1], v[165:166], v[218:219]
	;; [unrolled: 1-line block ×5, first 2 shown]
	v_add_f64 v[4:5], v[165:166], -v[218:219]
	v_add_f64 v[6:7], v[161:162], -v[220:221]
	;; [unrolled: 1-line block ×3, first 2 shown]
	v_add_f64 v[49:50], v[198:199], v[82:83]
	v_add_f64 v[68:69], v[202:203], v[149:150]
	v_add_f64 v[160:161], v[163:164], -v[181:182]
	v_add_f64 v[86:87], v[70:71], v[36:37]
	v_add_f64 v[90:91], v[70:71], -v[36:37]
	v_add_f64 v[74:75], v[8:9], v[0:1]
	v_add_f64 v[76:77], v[10:11], v[2:3]
	v_add_f64 v[78:79], v[8:9], -v[0:1]
	v_add_f64 v[84:85], v[10:11], -v[2:3]
	v_add_f64 v[88:89], v[72:73], v[38:39]
	v_add_f64 v[0:1], v[0:1], -v[49:50]
	v_add_f64 v[2:3], v[2:3], -v[68:69]
	v_add_f64 v[8:9], v[49:50], -v[8:9]
	v_add_f64 v[10:11], v[68:69], -v[10:11]
	v_add_f64 v[92:93], v[72:73], -v[38:39]
	v_add_f64 v[94:95], v[36:37], -v[4:5]
	v_add_f64 v[102:103], v[38:39], -v[6:7]
	v_add_f64 v[70:71], v[4:5], -v[70:71]
	v_add_f64 v[72:73], v[6:7], -v[72:73]
	v_add_f64 v[4:5], v[86:87], v[4:5]
	v_mul_f64 v[80:81], v[90:91], s[22:23]
	v_add_f64 v[49:50], v[49:50], v[74:75]
	v_add_f64 v[68:69], v[68:69], v[76:77]
	;; [unrolled: 1-line block ×3, first 2 shown]
	v_mul_f64 v[0:1], v[0:1], s[26:27]
	v_mul_f64 v[2:3], v[2:3], s[26:27]
	;; [unrolled: 1-line block ×7, first 2 shown]
	v_add_f64 v[36:37], v[205:206], v[49:50]
	v_add_f64 v[38:39], v[207:208], v[68:69]
	v_fma_f64 v[8:9], v[8:9], s[6:7], v[0:1]
	v_fma_f64 v[10:11], v[10:11], s[6:7], v[2:3]
	v_fma_f64 v[74:75], v[78:79], s[14:15], -v[74:75]
	v_fma_f64 v[76:77], v[84:85], s[14:15], -v[76:77]
	;; [unrolled: 1-line block ×4, first 2 shown]
	v_fma_f64 v[78:79], v[70:71], s[8:9], v[80:81]
	v_fma_f64 v[84:85], v[72:73], s[8:9], v[82:83]
	v_fma_f64 v[80:81], v[94:95], s[24:25], -v[80:81]
	v_fma_f64 v[82:83], v[102:103], s[24:25], -v[82:83]
	v_fma_f64 v[70:71], v[70:71], s[18:19], v[86:87]
	v_fma_f64 v[72:73], v[72:73], s[18:19], v[88:89]
	v_add_f64 v[102:103], v[114:115], -v[116:117]
	v_fma_f64 v[49:50], v[49:50], s[20:21], v[36:37]
	v_fma_f64 v[68:69], v[68:69], s[20:21], v[38:39]
	;; [unrolled: 1-line block ×6, first 2 shown]
	v_add_f64 v[8:9], v[8:9], v[49:50]
	v_add_f64 v[10:11], v[10:11], v[68:69]
	;; [unrolled: 1-line block ×6, first 2 shown]
	v_fma_f64 v[49:50], v[4:5], s[2:3], v[78:79]
	v_fma_f64 v[4:5], v[4:5], s[2:3], v[70:71]
	v_add_f64 v[72:73], v[92:93], v[8:9]
	v_add_f64 v[92:93], v[8:9], -v[92:93]
	v_add_f64 v[76:77], v[86:87], -v[82:83]
	v_add_f64 v[78:79], v[80:81], v[88:89]
	v_add_f64 v[68:69], v[6:7], v[0:1]
	;; [unrolled: 1-line block ×3, first 2 shown]
	v_add_f64 v[74:75], v[10:11], -v[49:50]
	v_add_f64 v[70:71], v[2:3], -v[4:5]
	;; [unrolled: 1-line block ×4, first 2 shown]
	v_add_f64 v[90:91], v[4:5], v[2:3]
	v_add_f64 v[94:95], v[49:50], v[10:11]
	;; [unrolled: 1-line block ×4, first 2 shown]
	v_add_f64 v[6:7], v[122:123], -v[100:101]
	v_add_f64 v[8:9], v[120:121], v[110:111]
	v_add_f64 v[10:11], v[118:119], v[104:105]
	v_add_f64 v[49:50], v[120:121], -v[110:111]
	v_add_f64 v[80:81], v[118:119], -v[104:105]
	v_add_f64 v[82:83], v[116:117], v[114:115]
	v_add_f64 v[100:101], v[112:113], v[108:109]
	v_add_f64 v[104:105], v[108:109], -v[112:113]
	v_add_f64 v[4:5], v[124:125], -v[106:107]
	v_add_f64 v[106:107], v[8:9], v[0:1]
	v_add_f64 v[108:109], v[10:11], v[2:3]
	v_add_f64 v[110:111], v[8:9], -v[0:1]
	v_add_f64 v[112:113], v[10:11], -v[2:3]
	v_add_f64 v[114:115], v[82:83], -v[8:9]
	;; [unrolled: 1-line block ×3, first 2 shown]
	v_add_f64 v[8:9], v[102:103], v[49:50]
	v_add_f64 v[10:11], v[104:105], v[80:81]
	v_add_f64 v[118:119], v[102:103], -v[49:50]
	v_add_f64 v[120:121], v[104:105], -v[80:81]
	;; [unrolled: 1-line block ×8, first 2 shown]
	v_add_f64 v[82:83], v[82:83], v[106:107]
	v_add_f64 v[100:101], v[100:101], v[108:109]
	v_mul_f64 v[106:107], v[114:115], s[6:7]
	v_mul_f64 v[108:109], v[116:117], s[6:7]
	v_add_f64 v[4:5], v[8:9], v[4:5]
	v_add_f64 v[6:7], v[10:11], v[6:7]
	s_clause 0x3
	buffer_load_dword v8, off, s[36:39], 0 offset:1176
	buffer_load_dword v9, off, s[36:39], 0 offset:1180
	;; [unrolled: 1-line block ×4, first 2 shown]
	v_mul_f64 v[118:119], v[118:119], s[22:23]
	v_mul_f64 v[120:121], v[120:121], s[22:23]
	;; [unrolled: 1-line block ×6, first 2 shown]
	v_fma_f64 v[106:107], v[110:111], s[14:15], -v[106:107]
	v_fma_f64 v[108:109], v[112:113], s[14:15], -v[108:109]
	;; [unrolled: 1-line block ×4, first 2 shown]
	v_fma_f64 v[114:115], v[114:115], s[6:7], v[0:1]
	v_fma_f64 v[116:117], v[116:117], s[6:7], v[2:3]
	v_fma_f64 v[0:1], v[110:111], s[16:17], -v[0:1]
	v_fma_f64 v[2:3], v[112:113], s[16:17], -v[2:3]
	v_fma_f64 v[110:111], v[102:103], s[8:9], v[118:119]
	v_fma_f64 v[112:113], v[104:105], s[8:9], v[120:121]
	;; [unrolled: 1-line block ×8, first 2 shown]
	s_waitcnt vmcnt(2)
	v_add_f64 v[8:9], v[8:9], v[82:83]
	s_waitcnt vmcnt(0)
	v_add_f64 v[10:11], v[10:11], v[100:101]
	v_fma_f64 v[82:83], v[82:83], s[20:21], v[8:9]
	v_fma_f64 v[100:101], v[100:101], s[20:21], v[10:11]
	v_add_f64 v[120:121], v[114:115], v[82:83]
	v_add_f64 v[122:123], v[116:117], v[100:101]
	;; [unrolled: 1-line block ×6, first 2 shown]
	v_fma_f64 v[82:83], v[4:5], s[2:3], v[110:111]
	v_fma_f64 v[4:5], v[4:5], s[2:3], v[102:103]
	v_add_f64 v[104:105], v[124:125], v[120:121]
	v_add_f64 v[120:121], v[120:121], -v[124:125]
	v_add_f64 v[108:109], v[114:115], -v[80:81]
	v_add_f64 v[110:111], v[49:50], v[116:117]
	v_add_f64 v[100:101], v[6:7], v[0:1]
	;; [unrolled: 1-line block ×3, first 2 shown]
	v_add_f64 v[106:107], v[122:123], -v[82:83]
	v_add_f64 v[102:103], v[2:3], -v[4:5]
	;; [unrolled: 1-line block ×4, first 2 shown]
	v_add_f64 v[118:119], v[4:5], v[2:3]
	v_add_f64 v[122:123], v[82:83], v[122:123]
	;; [unrolled: 1-line block ×4, first 2 shown]
	v_add_f64 v[4:5], v[132:133], -v[144:145]
	v_add_f64 v[49:50], v[126:127], v[140:141]
	v_add_f64 v[80:81], v[130:131], v[142:143]
	v_add_f64 v[82:83], v[126:127], -v[140:141]
	v_add_f64 v[124:125], v[130:131], -v[142:143]
	v_add_f64 v[130:131], v[128:129], v[138:139]
	v_add_f64 v[132:133], v[136:137], -v[153:154]
	v_add_f64 v[128:129], v[138:139], -v[128:129]
	;; [unrolled: 1-line block ×3, first 2 shown]
	v_add_f64 v[126:127], v[153:154], v[136:137]
	v_add_f64 v[134:135], v[49:50], v[0:1]
	;; [unrolled: 1-line block ×3, first 2 shown]
	v_add_f64 v[138:139], v[49:50], -v[0:1]
	v_add_f64 v[140:141], v[80:81], -v[2:3]
	v_add_f64 v[2:3], v[2:3], -v[130:131]
	v_add_f64 v[142:143], v[132:133], v[82:83]
	v_add_f64 v[144:145], v[128:129], v[124:125]
	v_add_f64 v[80:81], v[130:131], -v[80:81]
	v_add_f64 v[0:1], v[0:1], -v[126:127]
	;; [unrolled: 1-line block ×9, first 2 shown]
	v_add_f64 v[126:127], v[126:127], v[134:135]
	v_add_f64 v[130:131], v[130:131], v[136:137]
	v_mul_f64 v[2:3], v[2:3], s[26:27]
	v_add_f64 v[134:135], v[142:143], v[4:5]
	v_add_f64 v[136:137], v[144:145], v[6:7]
	s_clause 0x3
	buffer_load_dword v4, off, s[36:39], 0 offset:1144
	buffer_load_dword v5, off, s[36:39], 0 offset:1148
	;; [unrolled: 1-line block ×4, first 2 shown]
	v_mul_f64 v[0:1], v[0:1], s[26:27]
	v_mul_f64 v[142:143], v[49:50], s[6:7]
	;; [unrolled: 1-line block ×7, first 2 shown]
	v_fma_f64 v[80:81], v[80:81], s[6:7], v[2:3]
	v_fma_f64 v[2:3], v[140:141], s[16:17], -v[2:3]
	v_fma_f64 v[49:50], v[49:50], s[6:7], v[0:1]
	v_fma_f64 v[142:143], v[138:139], s[14:15], -v[142:143]
	v_fma_f64 v[144:145], v[140:141], s[14:15], -v[144:145]
	;; [unrolled: 1-line block ×3, first 2 shown]
	v_fma_f64 v[138:139], v[132:133], s[8:9], v[146:147]
	v_fma_f64 v[140:141], v[128:129], s[8:9], v[148:149]
	v_fma_f64 v[82:83], v[82:83], s[24:25], -v[146:147]
	v_fma_f64 v[124:125], v[124:125], s[24:25], -v[148:149]
	v_fma_f64 v[132:133], v[132:133], s[18:19], v[198:199]
	v_fma_f64 v[128:129], v[128:129], s[18:19], v[200:201]
	;; [unrolled: 1-line block ×8, first 2 shown]
	s_waitcnt vmcnt(2)
	v_add_f64 v[4:5], v[4:5], v[126:127]
	s_waitcnt vmcnt(0)
	v_add_f64 v[6:7], v[6:7], v[130:131]
	v_fma_f64 v[126:127], v[126:127], s[20:21], v[4:5]
	v_fma_f64 v[130:131], v[130:131], s[20:21], v[6:7]
	v_add_f64 v[49:50], v[49:50], v[126:127]
	v_add_f64 v[80:81], v[80:81], v[130:131]
	;; [unrolled: 1-line block ×7, first 2 shown]
	v_add_f64 v[130:131], v[80:81], -v[146:147]
	v_add_f64 v[132:133], v[142:143], -v[138:139]
	v_add_f64 v[134:135], v[82:83], v[144:145]
	v_add_f64 v[124:125], v[140:141], v[0:1]
	v_add_f64 v[126:127], v[2:3], -v[198:199]
	v_add_f64 v[136:137], v[138:139], v[142:143]
	v_add_f64 v[138:139], v[144:145], -v[82:83]
	v_add_f64 v[140:141], v[0:1], -v[140:141]
	v_add_f64 v[142:143], v[198:199], v[2:3]
	v_add_f64 v[144:145], v[49:50], -v[148:149]
	v_add_f64 v[146:147], v[146:147], v[80:81]
	v_add_f64 v[0:1], v[173:174], v[168:169]
	;; [unrolled: 1-line block ×3, first 2 shown]
	v_add_f64 v[80:81], v[158:159], -v[170:171]
	v_add_f64 v[82:83], v[183:184], v[151:152]
	v_add_f64 v[148:149], v[177:178], v[155:156]
	v_add_f64 v[152:153], v[183:184], -v[151:152]
	v_add_f64 v[154:155], v[177:178], -v[155:156]
	v_add_f64 v[156:157], v[181:182], v[163:164]
	v_add_f64 v[158:159], v[175:176], v[179:180]
	v_add_f64 v[150:151], v[179:180], -v[175:176]
	;; [unrolled: 4-line block ×3, first 2 shown]
	v_add_f64 v[168:169], v[148:149], -v[2:3]
	v_add_f64 v[170:171], v[0:1], -v[156:157]
	;; [unrolled: 1-line block ×3, first 2 shown]
	v_add_f64 v[0:1], v[160:161], v[152:153]
	v_add_f64 v[2:3], v[150:151], v[154:155]
	v_add_f64 v[198:199], v[160:161], -v[152:153]
	v_add_f64 v[200:201], v[150:151], -v[154:155]
	v_add_f64 v[160:161], v[49:50], -v[160:161]
	v_add_f64 v[150:151], v[80:81], -v[150:151]
	v_add_f64 v[152:153], v[152:153], -v[49:50]
	v_add_f64 v[154:155], v[154:155], -v[80:81]
	v_add_f64 v[82:83], v[156:157], -v[82:83]
	v_add_f64 v[148:149], v[158:159], -v[148:149]
	v_add_f64 v[156:157], v[156:157], v[162:163]
	v_add_f64 v[158:159], v[158:159], v[164:165]
	v_mul_f64 v[162:163], v[170:171], s[26:27]
	v_mul_f64 v[164:165], v[173:174], s[26:27]
	v_add_f64 v[49:50], v[0:1], v[49:50]
	v_add_f64 v[80:81], v[2:3], v[80:81]
	s_clause 0x3
	buffer_load_dword v0, off, s[36:39], 0 offset:1020
	buffer_load_dword v1, off, s[36:39], 0 offset:1024
	;; [unrolled: 1-line block ×4, first 2 shown]
	v_mul_f64 v[200:201], v[200:201], s[22:23]
	v_mul_f64 v[198:199], v[198:199], s[22:23]
	;; [unrolled: 1-line block ×6, first 2 shown]
	v_fma_f64 v[82:83], v[82:83], s[6:7], v[162:163]
	v_fma_f64 v[148:149], v[148:149], s[6:7], v[164:165]
	v_fma_f64 v[164:165], v[168:169], s[16:17], -v[164:165]
	v_fma_f64 v[162:163], v[166:167], s[16:17], -v[162:163]
	;; [unrolled: 1-line block ×6, first 2 shown]
	v_fma_f64 v[168:169], v[150:151], s[8:9], v[200:201]
	v_fma_f64 v[166:167], v[160:161], s[8:9], v[198:199]
	;; [unrolled: 1-line block ×6, first 2 shown]
	s_waitcnt vmcnt(2)
	v_add_f64 v[0:1], v[0:1], v[156:157]
	s_waitcnt vmcnt(0)
	v_add_f64 v[2:3], v[2:3], v[158:159]
	v_fma_f64 v[156:157], v[156:157], s[20:21], v[0:1]
	v_fma_f64 v[158:159], v[158:159], s[20:21], v[2:3]
	v_add_f64 v[82:83], v[82:83], v[156:157]
	v_add_f64 v[200:201], v[162:163], v[156:157]
	v_fma_f64 v[162:163], v[49:50], s[2:3], v[152:153]
	v_add_f64 v[170:171], v[170:171], v[156:157]
	v_add_f64 v[173:174], v[173:174], v[158:159]
	;; [unrolled: 1-line block ×3, first 2 shown]
	v_fma_f64 v[164:165], v[80:81], s[2:3], v[154:155]
	v_fma_f64 v[49:50], v[49:50], s[2:3], v[160:161]
	;; [unrolled: 1-line block ×3, first 2 shown]
	v_add_f64 v[198:199], v[148:149], v[158:159]
	v_add_f64 v[152:153], v[168:169], v[82:83]
	v_add_f64 v[168:169], v[82:83], -v[168:169]
	s_clause 0x3
	buffer_load_dword v82, off, s[36:39], 0 offset:1288
	buffer_load_dword v83, off, s[36:39], 0 offset:1292
	;; [unrolled: 1-line block ×4, first 2 shown]
	v_add_f64 v[158:159], v[162:163], v[173:174]
	v_add_f64 v[162:163], v[173:174], -v[162:163]
	v_add_f64 v[156:157], v[170:171], -v[164:165]
	;; [unrolled: 1-line block ×3, first 2 shown]
	v_add_f64 v[148:149], v[80:81], v[200:201]
	v_add_f64 v[160:161], v[164:165], v[170:171]
	v_add_f64 v[164:165], v[200:201], -v[80:81]
	v_add_f64 v[166:167], v[49:50], v[202:203]
	v_add_f64 v[80:81], v[186:187], v[194:195]
	v_add_f64 v[173:174], v[186:187], -v[194:195]
	s_clause 0x1
	buffer_load_dword v178, off, s[36:39], 0 offset:1240
	buffer_load_dword v179, off, s[36:39], 0 offset:1244
	v_add_f64 v[154:155], v[198:199], -v[206:207]
	v_add_f64 v[170:171], v[206:207], v[198:199]
	s_waitcnt vmcnt(4)
	v_add_f64 v[49:50], v[82:83], v[192:193]
	v_add_f64 v[82:83], v[82:83], -v[192:193]
	s_clause 0x7
	buffer_load_dword v180, off, s[36:39], 0 offset:1192
	buffer_load_dword v181, off, s[36:39], 0 offset:1196
	;; [unrolled: 1-line block ×8, first 2 shown]
	s_waitcnt vmcnt(10)
	v_add_f64 v[184:185], v[175:176], v[188:189]
	v_add_f64 v[176:177], v[175:176], -v[188:189]
	s_waitcnt vmcnt(8)
	v_add_f64 v[186:187], v[178:179], v[190:191]
	v_add_f64 v[178:179], v[178:179], -v[190:191]
	v_add_f64 v[198:199], v[184:185], -v[49:50]
	;; [unrolled: 1-line block ×3, first 2 shown]
	s_waitcnt vmcnt(4)
	v_add_f64 v[188:189], v[180:181], v[192:193]
	s_waitcnt vmcnt(0)
	v_add_f64 v[190:191], v[182:183], v[194:195]
	v_add_f64 v[180:181], v[192:193], -v[180:181]
	v_add_f64 v[182:183], v[194:195], -v[182:183]
	v_add_f64 v[192:193], v[184:185], v[49:50]
	v_add_f64 v[194:195], v[186:187], v[80:81]
	v_add_f64 v[49:50], v[49:50], -v[188:189]
	v_add_f64 v[202:203], v[80:81], -v[190:191]
	v_add_f64 v[80:81], v[180:181], v[176:177]
	v_add_f64 v[184:185], v[188:189], -v[184:185]
	v_add_f64 v[208:209], v[180:181], -v[176:177]
	;; [unrolled: 1-line block ×4, first 2 shown]
	v_add_f64 v[188:189], v[188:189], v[192:193]
	v_add_f64 v[186:187], v[190:191], -v[186:187]
	v_add_f64 v[206:207], v[182:183], v[178:179]
	v_add_f64 v[210:211], v[182:183], -v[178:179]
	v_add_f64 v[178:179], v[178:179], -v[173:174]
	v_add_f64 v[182:183], v[173:174], -v[182:183]
	v_add_f64 v[190:191], v[190:191], v[194:195]
	v_mul_f64 v[49:50], v[49:50], s[26:27]
	v_mul_f64 v[194:195], v[202:203], s[26:27]
	v_add_f64 v[192:193], v[80:81], v[82:83]
	s_clause 0x3
	buffer_load_dword v80, off, s[36:39], 0 offset:908
	buffer_load_dword v81, off, s[36:39], 0 offset:912
	;; [unrolled: 1-line block ×4, first 2 shown]
	v_mul_f64 v[202:203], v[184:185], s[6:7]
	v_mul_f64 v[208:209], v[208:209], s[22:23]
	;; [unrolled: 1-line block ×3, first 2 shown]
	s_waitcnt vmcnt(0)
	s_waitcnt_vscnt null, 0x0
	s_barrier
	v_add_f64 v[173:174], v[206:207], v[173:174]
	v_mul_f64 v[206:207], v[186:187], s[6:7]
	v_mul_f64 v[210:211], v[210:211], s[22:23]
	;; [unrolled: 1-line block ×3, first 2 shown]
	buffer_gl0_inv
	buffer_load_dword v51, off, s[36:39], 0 offset:956 ; 4-byte Folded Reload
	v_fma_f64 v[184:185], v[184:185], s[6:7], v[49:50]
	v_fma_f64 v[186:187], v[186:187], s[6:7], v[194:195]
	v_fma_f64 v[49:50], v[198:199], s[16:17], -v[49:50]
	v_fma_f64 v[194:195], v[200:201], s[16:17], -v[194:195]
	;; [unrolled: 1-line block ×3, first 2 shown]
	v_fma_f64 v[198:199], v[180:181], s[8:9], v[208:209]
	v_fma_f64 v[176:177], v[176:177], s[24:25], -v[208:209]
	v_fma_f64 v[180:181], v[180:181], s[18:19], v[212:213]
	v_fma_f64 v[206:207], v[200:201], s[14:15], -v[206:207]
	;; [unrolled: 2-line block ×3, first 2 shown]
	v_fma_f64 v[182:183], v[182:183], s[18:19], v[214:215]
	v_fma_f64 v[212:213], v[192:193], s[2:3], v[198:199]
	;; [unrolled: 1-line block ×4, first 2 shown]
	v_add_f64 v[80:81], v[80:81], v[188:189]
	v_add_f64 v[82:83], v[82:83], v[190:191]
	v_fma_f64 v[188:189], v[188:189], s[20:21], v[80:81]
	v_fma_f64 v[190:191], v[190:191], s[20:21], v[82:83]
	v_add_f64 v[208:209], v[184:185], v[188:189]
	v_add_f64 v[202:203], v[202:203], v[188:189]
	;; [unrolled: 1-line block ×3, first 2 shown]
	v_fma_f64 v[188:189], v[173:174], s[2:3], v[178:179]
	v_fma_f64 v[173:174], v[173:174], s[2:3], v[182:183]
	v_add_f64 v[210:211], v[186:187], v[190:191]
	v_add_f64 v[206:207], v[206:207], v[190:191]
	;; [unrolled: 1-line block ×3, first 2 shown]
	v_fma_f64 v[190:191], v[192:193], s[2:3], v[176:177]
	v_add_f64 v[176:177], v[198:199], v[208:209]
	v_add_f64 v[198:199], v[208:209], -v[198:199]
	v_add_f64 v[184:185], v[202:203], -v[188:189]
	v_add_f64 v[180:181], v[173:174], v[49:50]
	v_add_f64 v[192:193], v[49:50], -v[173:174]
	buffer_load_dword v50, off, s[36:39], 0 offset:940 ; 4-byte Folded Reload
	v_mov_b32_e32 v49, 49
	v_add_f64 v[178:179], v[210:211], -v[212:213]
	v_add_f64 v[182:183], v[194:195], -v[200:201]
	v_add_f64 v[186:187], v[190:191], v[206:207]
	v_add_f64 v[188:189], v[188:189], v[202:203]
	v_add_f64 v[190:191], v[206:207], -v[190:191]
	v_add_f64 v[194:195], v[200:201], v[194:195]
	v_add_f64 v[200:201], v[212:213], v[210:211]
	s_waitcnt vmcnt(0)
	v_mul_u32_u24_sdwa v50, v50, v49 dst_sel:DWORD dst_unused:UNUSED_PAD src0_sel:WORD_0 src1_sel:DWORD
	v_add_lshl_u32 v50, v50, v51, 4
	buffer_store_dword v50, off, s[36:39], 0 offset:2768 ; 4-byte Folded Spill
	ds_write_b128 v50, v[96:99]
	ds_write_b128 v50, v[16:19] offset:112
	ds_write_b128 v50, v[12:15] offset:224
	ds_write_b128 v50, v[20:23] offset:336
	ds_write_b128 v50, v[24:27] offset:448
	ds_write_b128 v50, v[28:31] offset:560
	ds_write_b128 v50, v[32:35] offset:672
	s_clause 0x1
	buffer_load_dword v12, off, s[36:39], 0 offset:988
	buffer_load_dword v13, off, s[36:39], 0 offset:1004
	s_waitcnt vmcnt(1)
	v_mul_u32_u24_sdwa v12, v12, v49 dst_sel:DWORD dst_unused:UNUSED_PAD src0_sel:WORD_0 src1_sel:DWORD
	s_waitcnt vmcnt(0)
	v_add_lshl_u32 v12, v12, v13, 4
	buffer_store_dword v12, off, s[36:39], 0 offset:2760 ; 4-byte Folded Spill
	ds_write_b128 v12, v[40:43]
	ds_write_b128 v12, v[222:225] offset:112
	ds_write_b128 v12, v[44:47] offset:224
	ds_write_b128 v12, v[52:55] offset:336
	ds_write_b128 v12, v[56:59] offset:448
	ds_write_b128 v12, v[60:63] offset:560
	ds_write_b128 v12, v[64:67] offset:672
	s_clause 0x1
	buffer_load_dword v12, off, s[36:39], 0 offset:1036
	buffer_load_dword v13, off, s[36:39], 0 offset:1052
	s_waitcnt vmcnt(1)
	v_mul_u32_u24_sdwa v12, v12, v49 dst_sel:DWORD dst_unused:UNUSED_PAD src0_sel:WORD_0 src1_sel:DWORD
	s_waitcnt vmcnt(0)
	;; [unrolled: 15-line block ×4, first 2 shown]
	v_add_lshl_u32 v8, v8, v9, 4
	buffer_store_dword v8, off, s[36:39], 0 offset:2244 ; 4-byte Folded Spill
	ds_write_b128 v8, v[4:7]
	ds_write_b128 v8, v[128:131] offset:112
	ds_write_b128 v8, v[124:127] offset:224
	;; [unrolled: 1-line block ×6, first 2 shown]
	buffer_load_dword v4, off, s[36:39], 0 offset:1136 ; 4-byte Folded Reload
	v_mov_b32_e32 v5, 4
	s_waitcnt vmcnt(0)
	v_mad_u16 v4, v4, 49, v172
	v_lshlrev_b32_sdwa v4, v5, v4 dst_sel:DWORD dst_unused:UNUSED_PAD src0_sel:DWORD src1_sel:WORD_0
	buffer_store_dword v4, off, s[36:39], 0 offset:1608 ; 4-byte Folded Spill
	ds_write_b128 v4, v[0:3]
	ds_write_b128 v4, v[152:155] offset:112
	ds_write_b128 v4, v[148:151] offset:224
	;; [unrolled: 1-line block ×6, first 2 shown]
	buffer_load_dword v0, off, s[36:39], 0 offset:1160 ; 4-byte Folded Reload
	s_waitcnt vmcnt(0)
	v_mad_u16 v0, v0, 49, v48
	v_lshlrev_b32_sdwa v0, v5, v0 dst_sel:DWORD dst_unused:UNUSED_PAD src0_sel:DWORD src1_sel:WORD_0
	buffer_store_dword v0, off, s[36:39], 0 offset:940 ; 4-byte Folded Spill
	ds_write_b128 v0, v[80:83]
	ds_write_b128 v0, v[176:179] offset:112
	ds_write_b128 v0, v[180:183] offset:224
	;; [unrolled: 1-line block ×6, first 2 shown]
	s_waitcnt lgkmcnt(0)
	s_waitcnt_vscnt null, 0x0
	s_barrier
	buffer_gl0_inv
	ds_read_b128 v[12:15], v196
	ds_read_b128 v[192:195], v196 offset:5488
	ds_read_b128 v[188:191], v196 offset:10976
	;; [unrolled: 1-line block ×42, first 2 shown]
	s_waitcnt lgkmcnt(0)
	buffer_store_dword v0, off, s[36:39], 0 offset:1004 ; 4-byte Folded Spill
	buffer_store_dword v1, off, s[36:39], 0 offset:1008 ; 4-byte Folded Spill
	;; [unrolled: 1-line block ×4, first 2 shown]
	ds_read_b128 v[44:47], v196 offset:10192
	ds_read_b128 v[40:43], v196 offset:15680
	;; [unrolled: 1-line block ×6, first 2 shown]
	buffer_load_dword v0, off, s[36:39], 0  ; 4-byte Folded Reload
	s_waitcnt vmcnt(0)
	v_mad_u64_u32 v[8:9], null, 0x60, v0, s[10:11]
	s_clause 0x3
	global_load_dwordx4 v[220:223], v[8:9], off offset:720
	global_load_dwordx4 v[48:51], v[8:9], off offset:704
	;; [unrolled: 1-line block ×4, first 2 shown]
	s_waitcnt vmcnt(0)
	v_mul_f64 v[0:1], v[194:195], v[242:243]
	v_mul_f64 v[38:39], v[170:171], v[242:243]
	v_fma_f64 v[10:11], v[192:193], v[240:241], -v[0:1]
	v_mul_f64 v[0:1], v[192:193], v[242:243]
	v_fma_f64 v[6:7], v[194:195], v[240:241], v[0:1]
	v_mul_f64 v[0:1], v[190:191], v[226:227]
	v_fma_f64 v[18:19], v[188:189], v[224:225], -v[0:1]
	v_mul_f64 v[0:1], v[188:189], v[226:227]
	v_fma_f64 v[16:17], v[190:191], v[224:225], v[0:1]
	s_clause 0x1
	global_load_dwordx4 v[188:191], v[8:9], off offset:752
	global_load_dwordx4 v[228:231], v[8:9], off offset:736
	v_mul_f64 v[0:1], v[186:187], v[50:51]
	v_fma_f64 v[36:37], v[184:185], v[48:49], -v[0:1]
	v_mul_f64 v[0:1], v[184:185], v[50:51]
	v_fma_f64 v[184:185], v[186:187], v[48:49], v[0:1]
	v_mul_f64 v[0:1], v[182:183], v[222:223]
	v_fma_f64 v[186:187], v[180:181], v[220:221], -v[0:1]
	v_mul_f64 v[0:1], v[180:181], v[222:223]
	v_fma_f64 v[180:181], v[182:183], v[220:221], v[0:1]
	s_waitcnt vmcnt(0)
	v_mul_f64 v[0:1], v[178:179], v[230:231]
	v_fma_f64 v[182:183], v[176:177], v[228:229], -v[0:1]
	v_mul_f64 v[0:1], v[176:177], v[230:231]
	v_fma_f64 v[4:5], v[178:179], v[228:229], v[0:1]
	v_mul_f64 v[0:1], v[174:175], v[190:191]
	v_fma_f64 v[2:3], v[172:173], v[188:189], -v[0:1]
	v_mul_f64 v[0:1], v[172:173], v[190:191]
	v_fma_f64 v[172:173], v[168:169], v[240:241], -v[38:39]
	v_mul_f64 v[38:39], v[168:169], v[242:243]
	v_fma_f64 v[0:1], v[174:175], v[188:189], v[0:1]
	v_fma_f64 v[168:169], v[170:171], v[240:241], v[38:39]
	v_mul_f64 v[38:39], v[166:167], v[226:227]
	v_fma_f64 v[250:251], v[164:165], v[224:225], -v[38:39]
	v_mul_f64 v[38:39], v[164:165], v[226:227]
	v_fma_f64 v[252:253], v[166:167], v[224:225], v[38:39]
	v_mov_b32_e32 v167, v51
	v_mov_b32_e32 v166, v50
	;; [unrolled: 1-line block ×4, first 2 shown]
	buffer_store_dword v164, off, s[36:39], 0 offset:1272 ; 4-byte Folded Spill
	buffer_store_dword v165, off, s[36:39], 0 offset:1276 ; 4-byte Folded Spill
	;; [unrolled: 1-line block ×12, first 2 shown]
	v_mul_f64 v[48:49], v[160:161], v[166:167]
	v_mul_f64 v[38:39], v[162:163], v[166:167]
	v_fma_f64 v[162:163], v[162:163], v[164:165], v[48:49]
	v_mul_f64 v[48:49], v[158:159], v[222:223]
	v_fma_f64 v[38:39], v[160:161], v[164:165], -v[38:39]
	v_fma_f64 v[160:161], v[156:157], v[220:221], -v[48:49]
	v_mul_f64 v[48:49], v[156:157], v[222:223]
	v_fma_f64 v[158:159], v[158:159], v[220:221], v[48:49]
	v_mul_f64 v[48:49], v[154:155], v[230:231]
	v_fma_f64 v[156:157], v[152:153], v[228:229], -v[48:49]
	v_mul_f64 v[48:49], v[152:153], v[230:231]
	v_fma_f64 v[152:153], v[154:155], v[228:229], v[48:49]
	v_mul_f64 v[48:49], v[150:151], v[190:191]
	v_fma_f64 v[50:51], v[148:149], v[188:189], -v[48:49]
	v_mul_f64 v[48:49], v[148:149], v[190:191]
	buffer_load_dword v148, off, s[36:39], 0 offset:796 ; 4-byte Folded Reload
	v_fma_f64 v[48:49], v[150:151], v[188:189], v[48:49]
	buffer_load_dword v150, off, s[36:39], 0 offset:844 ; 4-byte Folded Reload
	s_waitcnt vmcnt(1)
	v_mul_lo_u16 v148, 0x4f, v148
	v_lshrrev_b16 v148, 8, v148
	s_waitcnt vmcnt(0)
	v_sub_nc_u16 v149, v150, v148
	v_lshrrev_b16 v149, 1, v149
	v_and_b32_e32 v149, 0x7f, v149
	v_add_nc_u16 v148, v149, v148
	v_lshrrev_b16 v148, 5, v148
	v_mul_lo_u16 v148, v148, 49
	v_sub_nc_u16 v148, v150, v148
	v_and_b32_e32 v220, 0xff, v148
	v_mad_u64_u32 v[150:151], null, 0x60, v220, s[10:11]
	s_clause 0x3
	global_load_dwordx4 v[164:167], v[150:151], off offset:720
	global_load_dwordx4 v[174:177], v[150:151], off offset:704
	;; [unrolled: 1-line block ×4, first 2 shown]
	s_waitcnt vmcnt(0)
	buffer_store_dword v192, off, s[36:39], 0 offset:908 ; 4-byte Folded Spill
	buffer_store_dword v193, off, s[36:39], 0 offset:912 ; 4-byte Folded Spill
	;; [unrolled: 1-line block ×8, first 2 shown]
	v_mov_b32_e32 v179, v177
	v_mov_b32_e32 v178, v176
	;; [unrolled: 1-line block ×4, first 2 shown]
	buffer_store_dword v176, off, s[36:39], 0 offset:988 ; 4-byte Folded Spill
	buffer_store_dword v177, off, s[36:39], 0 offset:992 ; 4-byte Folded Spill
	;; [unrolled: 1-line block ×8, first 2 shown]
	v_mul_f64 v[148:149], v[146:147], v[194:195]
	v_fma_f64 v[148:149], v[144:145], v[192:193], -v[148:149]
	v_mul_f64 v[144:145], v[144:145], v[194:195]
	v_fma_f64 v[210:211], v[146:147], v[192:193], v[144:145]
	v_mul_f64 v[144:145], v[142:143], v[190:191]
	v_fma_f64 v[144:145], v[140:141], v[188:189], -v[144:145]
	v_mul_f64 v[140:141], v[140:141], v[190:191]
	v_fma_f64 v[140:141], v[142:143], v[188:189], v[140:141]
	;; [unrolled: 4-line block ×4, first 2 shown]
	s_clause 0x1
	global_load_dwordx4 v[164:167], v[150:151], off offset:752
	global_load_dwordx4 v[176:179], v[150:151], off offset:736
	s_waitcnt vmcnt(0)
	v_mul_f64 v[132:133], v[130:131], v[178:179]
	v_fma_f64 v[236:237], v[128:129], v[176:177], -v[132:133]
	buffer_store_dword v176, off, s[36:39], 0 offset:1052 ; 4-byte Folded Spill
	buffer_store_dword v177, off, s[36:39], 0 offset:1056 ; 4-byte Folded Spill
	;; [unrolled: 1-line block ×8, first 2 shown]
	v_mul_f64 v[128:129], v[128:129], v[178:179]
	v_fma_f64 v[238:239], v[130:131], v[176:177], v[128:129]
	v_mul_f64 v[128:129], v[126:127], v[166:167]
	v_fma_f64 v[244:245], v[124:125], v[164:165], -v[128:129]
	v_mul_f64 v[124:125], v[124:125], v[166:167]
	v_fma_f64 v[254:255], v[126:127], v[164:165], v[124:125]
	s_clause 0x1
	buffer_load_dword v124, off, s[36:39], 0 offset:812
	buffer_load_dword v126, off, s[36:39], 0 offset:876
	s_waitcnt vmcnt(1)
	v_mul_lo_u16 v124, 0x4f, v124
	v_lshrrev_b16 v124, 8, v124
	s_waitcnt vmcnt(0)
	v_sub_nc_u16 v125, v126, v124
	v_lshrrev_b16 v125, 1, v125
	v_and_b32_e32 v125, 0x7f, v125
	v_add_nc_u16 v124, v125, v124
	v_lshrrev_b16 v124, 5, v124
	v_mul_lo_u16 v124, v124, 49
	v_sub_nc_u16 v124, v126, v124
	v_and_b32_e32 v221, 0xff, v124
	v_mad_u64_u32 v[126:127], null, 0x60, v221, s[10:11]
	s_clause 0x3
	global_load_dwordx4 v[128:131], v[126:127], off offset:720
	global_load_dwordx4 v[132:135], v[126:127], off offset:704
	;; [unrolled: 1-line block ×4, first 2 shown]
	s_waitcnt vmcnt(0)
	v_mul_f64 v[124:125], v[122:123], v[178:179]
	v_fma_f64 v[124:125], v[120:121], v[176:177], -v[124:125]
	buffer_store_dword v176, off, s[36:39], 0 offset:1116 ; 4-byte Folded Spill
	buffer_store_dword v177, off, s[36:39], 0 offset:1120 ; 4-byte Folded Spill
	;; [unrolled: 1-line block ×16, first 2 shown]
	v_mul_f64 v[120:121], v[120:121], v[178:179]
	v_fma_f64 v[122:123], v[122:123], v[176:177], v[120:121]
	v_mul_f64 v[120:121], v[118:119], v[166:167]
	v_fma_f64 v[120:121], v[116:117], v[164:165], -v[120:121]
	v_mul_f64 v[116:117], v[116:117], v[166:167]
	v_fma_f64 v[118:119], v[118:119], v[164:165], v[116:117]
	v_mul_f64 v[116:117], v[114:115], v[134:135]
	v_fma_f64 v[116:117], v[112:113], v[132:133], -v[116:117]
	;; [unrolled: 4-line block ×3, first 2 shown]
	v_mul_f64 v[108:109], v[108:109], v[130:131]
	v_fma_f64 v[108:109], v[110:111], v[128:129], v[108:109]
	s_clause 0x1
	global_load_dwordx4 v[128:131], v[126:127], off offset:752
	global_load_dwordx4 v[132:135], v[126:127], off offset:736
	s_waitcnt vmcnt(0)
	buffer_store_dword v132, off, s[36:39], 0 offset:1256 ; 4-byte Folded Spill
	buffer_store_dword v133, off, s[36:39], 0 offset:1260 ; 4-byte Folded Spill
	;; [unrolled: 1-line block ×8, first 2 shown]
	buffer_load_dword v126, off, s[36:39], 0 offset:892 ; 4-byte Folded Reload
	v_mul_f64 v[110:111], v[106:107], v[134:135]
	v_fma_f64 v[110:111], v[104:105], v[132:133], -v[110:111]
	v_mul_f64 v[104:105], v[104:105], v[134:135]
	v_fma_f64 v[104:105], v[106:107], v[132:133], v[104:105]
	v_mul_f64 v[106:107], v[102:103], v[130:131]
	v_fma_f64 v[106:107], v[100:101], v[128:129], -v[106:107]
	v_mul_f64 v[100:101], v[100:101], v[130:131]
	v_fma_f64 v[100:101], v[102:103], v[128:129], v[100:101]
	buffer_load_dword v102, off, s[36:39], 0 offset:828 ; 4-byte Folded Reload
	s_waitcnt vmcnt(0)
	v_mul_lo_u16 v102, 0x4f, v102
	v_lshrrev_b16 v102, 8, v102
	v_sub_nc_u16 v103, v126, v102
	v_lshrrev_b16 v103, 1, v103
	v_and_b32_e32 v103, 0x7f, v103
	v_add_nc_u16 v102, v103, v102
	v_lshrrev_b16 v102, 5, v102
	v_mul_lo_u16 v102, v102, 49
	v_sub_nc_u16 v102, v126, v102
	v_and_b32_e32 v222, 0xff, v102
	v_mad_u64_u32 v[102:103], null, 0x60, v222, s[10:11]
	s_clause 0x3
	global_load_dwordx4 v[164:167], v[102:103], off offset:720
	global_load_dwordx4 v[176:179], v[102:103], off offset:704
	;; [unrolled: 1-line block ×4, first 2 shown]
	s_waitcnt vmcnt(0)
	v_mul_f64 v[126:127], v[98:99], v[190:191]
	v_fma_f64 v[132:133], v[96:97], v[188:189], -v[126:127]
	buffer_store_dword v188, off, s[36:39], 0 offset:1368 ; 4-byte Folded Spill
	buffer_store_dword v189, off, s[36:39], 0 offset:1372 ; 4-byte Folded Spill
	;; [unrolled: 1-line block ×16, first 2 shown]
	v_mul_f64 v[96:97], v[96:97], v[190:191]
	v_fma_f64 v[134:135], v[98:99], v[188:189], v[96:97]
	v_mul_f64 v[96:97], v[94:95], v[130:131]
	v_fma_f64 v[126:127], v[92:93], v[128:129], -v[96:97]
	v_mul_f64 v[92:93], v[92:93], v[130:131]
	v_fma_f64 v[130:131], v[94:95], v[128:129], v[92:93]
	v_mul_f64 v[92:93], v[90:91], v[178:179]
	v_fma_f64 v[150:151], v[88:89], v[176:177], -v[92:93]
	;; [unrolled: 4-line block ×3, first 2 shown]
	v_mul_f64 v[84:85], v[84:85], v[166:167]
	v_fma_f64 v[138:139], v[86:87], v[164:165], v[84:85]
	s_clause 0x1
	global_load_dwordx4 v[86:89], v[102:103], off offset:752
	global_load_dwordx4 v[90:93], v[102:103], off offset:736
	s_waitcnt vmcnt(0)
	v_mul_f64 v[84:85], v[82:83], v[92:93]
	v_fma_f64 v[96:97], v[80:81], v[90:91], -v[84:85]
	buffer_store_dword v90, off, s[36:39], 0 offset:1496 ; 4-byte Folded Spill
	buffer_store_dword v91, off, s[36:39], 0 offset:1500 ; 4-byte Folded Spill
	;; [unrolled: 1-line block ×8, first 2 shown]
	v_mov_b32_e32 v84, 0x4e5f
	v_mul_f64 v[80:81], v[80:81], v[92:93]
	v_fma_f64 v[142:143], v[82:83], v[90:91], v[80:81]
	v_mul_f64 v[80:81], v[78:79], v[88:89]
	v_fma_f64 v[80:81], v[76:77], v[86:87], -v[80:81]
	v_mul_f64 v[76:77], v[76:77], v[88:89]
	v_fma_f64 v[146:147], v[78:79], v[86:87], v[76:77]
	buffer_load_dword v78, off, s[36:39], 0 offset:972 ; 4-byte Folded Reload
	s_waitcnt vmcnt(0)
	v_mul_u32_u24_sdwa v76, v78, v84 dst_sel:DWORD dst_unused:UNUSED_PAD src0_sel:WORD_0 src1_sel:DWORD
	v_lshrrev_b32_e32 v76, 16, v76
	v_sub_nc_u16 v77, v78, v76
	v_lshrrev_b16 v77, 1, v77
	v_add_nc_u16 v76, v77, v76
	v_lshrrev_b16 v76, 5, v76
	v_mul_lo_u16 v76, v76, 49
	v_sub_nc_u16 v205, v78, v76
	v_mul_lo_u16 v76, 0x60, v205
	v_and_b32_e32 v76, 0xffff, v76
	v_add_co_u32 v76, s28, s10, v76
	v_add_co_ci_u32_e64 v77, null, s11, 0, s28
	s_clause 0x3
	global_load_dwordx4 v[85:88], v[76:77], off offset:720
	global_load_dwordx4 v[89:92], v[76:77], off offset:704
	;; [unrolled: 1-line block ×4, first 2 shown]
	s_waitcnt vmcnt(0)
	v_mul_f64 v[78:79], v[74:75], v[178:179]
	v_fma_f64 v[190:191], v[72:73], v[176:177], -v[78:79]
	buffer_store_dword v176, off, s[36:39], 0 offset:1660 ; 4-byte Folded Spill
	buffer_store_dword v177, off, s[36:39], 0 offset:1664 ; 4-byte Folded Spill
	;; [unrolled: 1-line block ×16, first 2 shown]
	v_mul_f64 v[72:73], v[72:73], v[178:179]
	v_fma_f64 v[178:179], v[74:75], v[176:177], v[72:73]
	v_mul_f64 v[72:73], v[70:71], v[166:167]
	v_fma_f64 v[192:193], v[68:69], v[164:165], -v[72:73]
	v_mul_f64 v[68:69], v[68:69], v[166:167]
	v_add_f64 v[72:73], v[234:235], -v[136:137]
	v_fma_f64 v[188:189], v[70:71], v[164:165], v[68:69]
	v_mul_f64 v[68:69], v[66:67], v[91:92]
	v_fma_f64 v[198:199], v[64:65], v[89:90], -v[68:69]
	v_mul_f64 v[64:65], v[64:65], v[91:92]
	v_fma_f64 v[194:195], v[66:67], v[89:90], v[64:65]
	v_mul_f64 v[64:65], v[62:63], v[87:88]
	v_fma_f64 v[176:177], v[60:61], v[85:86], -v[64:65]
	v_mul_f64 v[60:61], v[60:61], v[87:88]
	v_fma_f64 v[154:155], v[62:63], v[85:86], v[60:61]
	s_clause 0x1
	global_load_dwordx4 v[62:65], v[76:77], off offset:752
	global_load_dwordx4 v[66:69], v[76:77], off offset:736
	s_waitcnt vmcnt(0)
	buffer_store_dword v66, off, s[36:39], 0 offset:1756 ; 4-byte Folded Spill
	buffer_store_dword v67, off, s[36:39], 0 offset:1760 ; 4-byte Folded Spill
	;; [unrolled: 1-line block ×8, first 2 shown]
	v_mul_f64 v[60:61], v[58:59], v[68:69]
	v_fma_f64 v[164:165], v[56:57], v[66:67], -v[60:61]
	v_mul_f64 v[56:57], v[56:57], v[68:69]
	v_fma_f64 v[166:167], v[58:59], v[66:67], v[56:57]
	v_mul_f64 v[56:57], v[54:55], v[64:65]
	v_fma_f64 v[82:83], v[52:53], v[62:63], -v[56:57]
	v_mul_f64 v[52:53], v[52:53], v[64:65]
	v_fma_f64 v[170:171], v[54:55], v[62:63], v[52:53]
	buffer_load_dword v54, off, s[36:39], 0 offset:860 ; 4-byte Folded Reload
	s_waitcnt vmcnt(0)
	v_mul_u32_u24_sdwa v52, v54, v84 dst_sel:DWORD dst_unused:UNUSED_PAD src0_sel:WORD_0 src1_sel:DWORD
	v_lshrrev_b32_e32 v52, 16, v52
	v_sub_nc_u16 v53, v54, v52
	v_lshrrev_b16 v53, 1, v53
	v_add_nc_u16 v52, v53, v52
	v_lshrrev_b16 v52, 5, v52
	v_mul_lo_u16 v52, v52, 49
	v_sub_nc_u16 v223, v54, v52
	v_mul_lo_u16 v52, 0x60, v223
	v_and_b32_e32 v52, 0xffff, v52
	v_add_co_u32 v52, s28, s10, v52
	v_add_co_ci_u32_e64 v53, null, s11, 0, s28
	s_clause 0x3
	global_load_dwordx4 v[56:59], v[52:53], off offset:720
	global_load_dwordx4 v[60:63], v[52:53], off offset:704
	;; [unrolled: 1-line block ×4, first 2 shown]
	s_waitcnt vmcnt(0) lgkmcnt(5)
	v_mul_f64 v[54:55], v[46:47], v[70:71]
	v_fma_f64 v[54:55], v[44:45], v[68:69], -v[54:55]
	buffer_store_dword v54, off, s[36:39], 0 offset:892 ; 4-byte Folded Spill
	buffer_store_dword v55, off, s[36:39], 0 offset:896 ; 4-byte Folded Spill
	;; [unrolled: 1-line block ×6, first 2 shown]
	v_mul_f64 v[44:45], v[44:45], v[70:71]
	v_add_f64 v[70:71], v[232:233], -v[174:175]
	v_fma_f64 v[44:45], v[46:47], v[68:69], v[44:45]
	buffer_store_dword v44, off, s[36:39], 0 offset:972 ; 4-byte Folded Spill
	buffer_store_dword v45, off, s[36:39], 0 offset:976 ; 4-byte Folded Spill
	;; [unrolled: 1-line block ×6, first 2 shown]
	v_add_f64 v[68:69], v[136:137], v[234:235]
	s_waitcnt lgkmcnt(4)
	v_mul_f64 v[44:45], v[42:43], v[66:67]
	v_fma_f64 v[44:45], v[40:41], v[64:65], -v[44:45]
	v_mul_f64 v[40:41], v[40:41], v[66:67]
	buffer_store_dword v44, off, s[36:39], 0 offset:828 ; 4-byte Folded Spill
	buffer_store_dword v45, off, s[36:39], 0 offset:832 ; 4-byte Folded Spill
	v_fma_f64 v[40:41], v[42:43], v[64:65], v[40:41]
	buffer_store_dword v40, off, s[36:39], 0 offset:844 ; 4-byte Folded Spill
	buffer_store_dword v41, off, s[36:39], 0 offset:848 ; 4-byte Folded Spill
	;; [unrolled: 1-line block ×6, first 2 shown]
	s_waitcnt lgkmcnt(3)
	v_mul_f64 v[40:41], v[34:35], v[62:63]
	v_fma_f64 v[40:41], v[32:33], v[60:61], -v[40:41]
	v_mul_f64 v[32:33], v[32:33], v[62:63]
	buffer_store_dword v40, off, s[36:39], 0 offset:796 ; 4-byte Folded Spill
	buffer_store_dword v41, off, s[36:39], 0 offset:800 ; 4-byte Folded Spill
	v_fma_f64 v[32:33], v[34:35], v[60:61], v[32:33]
	buffer_store_dword v32, off, s[36:39], 0 offset:812 ; 4-byte Folded Spill
	buffer_store_dword v33, off, s[36:39], 0 offset:816 ; 4-byte Folded Spill
	;; [unrolled: 1-line block ×6, first 2 shown]
	s_waitcnt lgkmcnt(2)
	v_mul_f64 v[32:33], v[30:31], v[58:59]
	v_fma_f64 v[32:33], v[28:29], v[56:57], -v[32:33]
	v_mul_f64 v[28:29], v[28:29], v[58:59]
	buffer_store_dword v32, off, s[36:39], 0 offset:860 ; 4-byte Folded Spill
	buffer_store_dword v33, off, s[36:39], 0 offset:864 ; 4-byte Folded Spill
	v_fma_f64 v[28:29], v[30:31], v[56:57], v[28:29]
	buffer_store_dword v28, off, s[36:39], 0 offset:876 ; 4-byte Folded Spill
	buffer_store_dword v29, off, s[36:39], 0 offset:880 ; 4-byte Folded Spill
	s_clause 0x1
	global_load_dwordx4 v[30:33], v[52:53], off offset:752
	global_load_dwordx4 v[40:43], v[52:53], off offset:736
	s_waitcnt vmcnt(0) lgkmcnt(1)
	v_mul_f64 v[28:29], v[26:27], v[42:43]
	v_fma_f64 v[28:29], v[24:25], v[40:41], -v[28:29]
	buffer_store_dword v28, off, s[36:39], 0 offset:1036 ; 4-byte Folded Spill
	buffer_store_dword v29, off, s[36:39], 0 offset:1040 ; 4-byte Folded Spill
	;; [unrolled: 1-line block ×6, first 2 shown]
	v_add_f64 v[28:29], v[180:181], -v[184:185]
	v_mul_f64 v[24:25], v[24:25], v[42:43]
	v_fma_f64 v[24:25], v[26:27], v[40:41], v[24:25]
	buffer_store_dword v24, off, s[36:39], 0 offset:1084 ; 4-byte Folded Spill
	buffer_store_dword v25, off, s[36:39], 0 offset:1088 ; 4-byte Folded Spill
	buffer_store_dword v30, off, s[36:39], 0 offset:2052 ; 4-byte Folded Spill
	buffer_store_dword v31, off, s[36:39], 0 offset:2056 ; 4-byte Folded Spill
	buffer_store_dword v32, off, s[36:39], 0 offset:2060 ; 4-byte Folded Spill
	buffer_store_dword v33, off, s[36:39], 0 offset:2064 ; 4-byte Folded Spill
	v_add_f64 v[26:27], v[186:187], -v[36:37]
	s_waitcnt lgkmcnt(0)
	v_mul_f64 v[24:25], v[22:23], v[32:33]
	v_fma_f64 v[24:25], v[20:21], v[30:31], -v[24:25]
	v_mul_f64 v[20:21], v[20:21], v[32:33]
	buffer_store_dword v24, off, s[36:39], 0 offset:1100 ; 4-byte Folded Spill
	buffer_store_dword v25, off, s[36:39], 0 offset:1104 ; 4-byte Folded Spill
	v_fma_f64 v[20:21], v[22:23], v[30:31], v[20:21]
	buffer_store_dword v20, off, s[36:39], 0 offset:1136 ; 4-byte Folded Spill
	buffer_store_dword v21, off, s[36:39], 0 offset:1140 ; 4-byte Folded Spill
	v_add_f64 v[20:21], v[10:11], v[2:3]
	v_add_f64 v[22:23], v[6:7], v[0:1]
	v_add_f64 v[2:3], v[10:11], -v[2:3]
	v_add_f64 v[0:1], v[6:7], -v[0:1]
	v_add_f64 v[6:7], v[18:19], v[182:183]
	v_add_f64 v[10:11], v[16:17], v[4:5]
	v_add_f64 v[18:19], v[18:19], -v[182:183]
	v_add_f64 v[4:5], v[16:17], -v[4:5]
	v_add_f64 v[16:17], v[36:37], v[186:187]
	v_add_f64 v[24:25], v[184:185], v[180:181]
	;; [unrolled: 1-line block ×4, first 2 shown]
	v_add_f64 v[34:35], v[6:7], -v[20:21]
	v_add_f64 v[36:37], v[10:11], -v[22:23]
	;; [unrolled: 1-line block ×6, first 2 shown]
	v_add_f64 v[40:41], v[26:27], v[18:19]
	v_add_f64 v[42:43], v[28:29], v[4:5]
	v_add_f64 v[44:45], v[26:27], -v[18:19]
	v_add_f64 v[46:47], v[28:29], -v[4:5]
	v_add_f64 v[18:19], v[18:19], -v[2:3]
	v_add_f64 v[4:5], v[4:5], -v[0:1]
	v_add_f64 v[26:27], v[2:3], -v[26:27]
	v_add_f64 v[28:29], v[0:1], -v[28:29]
	v_add_f64 v[16:17], v[16:17], v[30:31]
	v_add_f64 v[24:25], v[24:25], v[32:33]
	v_mul_f64 v[20:21], v[20:21], s[26:27]
	v_mul_f64 v[22:23], v[22:23], s[26:27]
	v_mul_f64 v[30:31], v[6:7], s[6:7]
	v_mul_f64 v[32:33], v[10:11], s[6:7]
	v_add_f64 v[2:3], v[40:41], v[2:3]
	v_add_f64 v[0:1], v[42:43], v[0:1]
	v_mul_f64 v[40:41], v[44:45], s[22:23]
	v_mul_f64 v[42:43], v[46:47], s[22:23]
	;; [unrolled: 1-line block ×4, first 2 shown]
	v_add_f64 v[12:13], v[12:13], v[16:17]
	v_add_f64 v[14:15], v[14:15], v[24:25]
	v_fma_f64 v[6:7], v[6:7], s[6:7], v[20:21]
	v_fma_f64 v[10:11], v[10:11], s[6:7], v[22:23]
	v_fma_f64 v[30:31], v[34:35], s[14:15], -v[30:31]
	v_fma_f64 v[32:33], v[36:37], s[14:15], -v[32:33]
	;; [unrolled: 1-line block ×4, first 2 shown]
	v_fma_f64 v[34:35], v[26:27], s[8:9], v[40:41]
	v_fma_f64 v[36:37], v[28:29], s[8:9], v[42:43]
	v_fma_f64 v[18:19], v[18:19], s[24:25], -v[40:41]
	v_fma_f64 v[4:5], v[4:5], s[24:25], -v[42:43]
	v_fma_f64 v[26:27], v[26:27], s[18:19], v[44:45]
	v_fma_f64 v[28:29], v[28:29], s[18:19], v[46:47]
	v_add_f64 v[42:43], v[162:163], v[158:159]
	v_add_f64 v[44:45], v[158:159], -v[162:163]
	v_fma_f64 v[16:17], v[16:17], s[20:21], v[12:13]
	v_fma_f64 v[24:25], v[24:25], s[20:21], v[14:15]
	;; [unrolled: 1-line block ×8, first 2 shown]
	v_add_f64 v[6:7], v[6:7], v[16:17]
	v_add_f64 v[10:11], v[10:11], v[24:25]
	v_add_f64 v[30:31], v[30:31], v[16:17]
	v_add_f64 v[16:17], v[20:21], v[16:17]
	v_add_f64 v[40:41], v[22:23], v[24:25]
	v_add_f64 v[32:33], v[32:33], v[24:25]
	v_add_f64 v[20:21], v[36:37], v[6:7]
	v_add_f64 v[22:23], v[10:11], -v[34:35]
	v_add_f64 v[24:25], v[30:31], -v[4:5]
	v_add_f64 v[180:181], v[0:1], v[16:17]
	v_add_f64 v[182:183], v[40:41], -v[2:3]
	v_add_f64 v[184:185], v[4:5], v[30:31]
	;; [unrolled: 2-line block ×3, first 2 shown]
	v_add_f64 v[34:35], v[34:35], v[10:11]
	v_add_f64 v[0:1], v[172:173], v[50:51]
	;; [unrolled: 1-line block ×6, first 2 shown]
	v_add_f64 v[186:187], v[32:33], -v[18:19]
	v_add_f64 v[32:33], v[6:7], -v[36:37]
	;; [unrolled: 1-line block ×6, first 2 shown]
	v_add_f64 v[40:41], v[38:39], v[160:161]
	v_add_f64 v[38:39], v[160:161], -v[38:39]
	v_add_f64 v[152:153], v[154:155], -v[194:195]
	v_add_f64 v[46:47], v[10:11], v[0:1]
	v_add_f64 v[48:49], v[16:17], v[2:3]
	v_add_f64 v[50:51], v[10:11], -v[0:1]
	v_add_f64 v[52:53], v[16:17], -v[2:3]
	;; [unrolled: 1-line block ×4, first 2 shown]
	v_add_f64 v[56:57], v[44:45], v[36:37]
	v_add_f64 v[0:1], v[0:1], -v[40:41]
	v_add_f64 v[10:11], v[40:41], -v[10:11]
	v_add_f64 v[54:55], v[38:39], v[18:19]
	v_add_f64 v[58:59], v[38:39], -v[18:19]
	v_add_f64 v[60:61], v[44:45], -v[36:37]
	;; [unrolled: 1-line block ×6, first 2 shown]
	v_add_f64 v[40:41], v[40:41], v[46:47]
	v_add_f64 v[42:43], v[42:43], v[48:49]
	v_mul_f64 v[2:3], v[2:3], s[26:27]
	v_mul_f64 v[48:49], v[16:17], s[6:7]
	v_add_f64 v[6:7], v[56:57], v[6:7]
	v_mul_f64 v[0:1], v[0:1], s[26:27]
	v_mul_f64 v[46:47], v[10:11], s[6:7]
	;; [unrolled: 3-line block ×3, first 2 shown]
	v_mul_f64 v[58:59], v[18:19], s[4:5]
	v_mul_f64 v[60:61], v[64:65], s[4:5]
	v_add_f64 v[36:37], v[246:247], v[40:41]
	v_add_f64 v[38:39], v[248:249], v[42:43]
	v_fma_f64 v[16:17], v[16:17], s[6:7], v[2:3]
	v_fma_f64 v[48:49], v[52:53], s[14:15], -v[48:49]
	v_fma_f64 v[2:3], v[52:53], s[16:17], -v[2:3]
	v_fma_f64 v[10:11], v[10:11], s[6:7], v[0:1]
	v_fma_f64 v[46:47], v[50:51], s[14:15], -v[46:47]
	v_fma_f64 v[0:1], v[50:51], s[16:17], -v[0:1]
	v_fma_f64 v[50:51], v[62:63], s[8:9], v[54:55]
	v_fma_f64 v[52:53], v[44:45], s[8:9], v[56:57]
	v_fma_f64 v[18:19], v[18:19], s[24:25], -v[54:55]
	v_fma_f64 v[54:55], v[64:65], s[24:25], -v[56:57]
	v_fma_f64 v[56:57], v[62:63], s[18:19], v[58:59]
	v_fma_f64 v[44:45], v[44:45], s[18:19], v[60:61]
	;; [unrolled: 1-line block ×10, first 2 shown]
	v_add_f64 v[10:11], v[10:11], v[40:41]
	v_add_f64 v[16:17], v[16:17], v[42:43]
	;; [unrolled: 1-line block ×7, first 2 shown]
	v_add_f64 v[46:47], v[16:17], -v[50:51]
	v_add_f64 v[52:53], v[58:59], -v[60:61]
	v_add_f64 v[40:41], v[6:7], v[0:1]
	v_add_f64 v[42:43], v[2:3], -v[4:5]
	v_add_f64 v[56:57], v[60:61], v[58:59]
	;; [unrolled: 2-line block ×4, first 2 shown]
	v_add_f64 v[0:1], v[148:149], v[244:245]
	v_add_f64 v[2:3], v[210:211], v[254:255]
	;; [unrolled: 1-line block ×5, first 2 shown]
	v_add_f64 v[58:59], v[48:49], -v[18:19]
	v_add_f64 v[4:5], v[148:149], -v[244:245]
	;; [unrolled: 1-line block ×5, first 2 shown]
	v_add_f64 v[50:51], v[174:175], v[232:233]
	v_add_f64 v[148:149], v[194:195], v[154:155]
	;; [unrolled: 1-line block ×4, first 2 shown]
	v_add_f64 v[78:79], v[10:11], -v[0:1]
	v_add_f64 v[84:85], v[16:17], -v[2:3]
	;; [unrolled: 1-line block ×4, first 2 shown]
	v_add_f64 v[86:87], v[70:71], v[18:19]
	v_add_f64 v[88:89], v[72:73], v[48:49]
	v_add_f64 v[0:1], v[0:1], -v[50:51]
	v_add_f64 v[10:11], v[50:51], -v[10:11]
	;; [unrolled: 1-line block ×8, first 2 shown]
	v_add_f64 v[74:75], v[50:51], v[74:75]
	v_add_f64 v[68:69], v[68:69], v[76:77]
	v_mul_f64 v[2:3], v[2:3], s[26:27]
	v_add_f64 v[4:5], v[86:87], v[4:5]
	v_add_f64 v[6:7], v[88:89], v[6:7]
	v_mul_f64 v[0:1], v[0:1], s[26:27]
	v_mul_f64 v[76:77], v[10:11], s[6:7]
	;; [unrolled: 1-line block ×7, first 2 shown]
	v_add_f64 v[48:49], v[206:207], v[74:75]
	v_add_f64 v[50:51], v[208:209], v[68:69]
	v_fma_f64 v[16:17], v[16:17], s[6:7], v[2:3]
	v_fma_f64 v[2:3], v[84:85], s[16:17], -v[2:3]
	v_fma_f64 v[10:11], v[10:11], s[6:7], v[0:1]
	v_fma_f64 v[76:77], v[78:79], s[14:15], -v[76:77]
	v_fma_f64 v[86:87], v[84:85], s[14:15], -v[86:87]
	;; [unrolled: 1-line block ×3, first 2 shown]
	v_fma_f64 v[78:79], v[70:71], s[8:9], v[88:89]
	v_fma_f64 v[84:85], v[72:73], s[8:9], v[90:91]
	v_fma_f64 v[18:19], v[18:19], s[24:25], -v[88:89]
	v_fma_f64 v[88:89], v[94:95], s[24:25], -v[90:91]
	v_fma_f64 v[70:71], v[70:71], s[18:19], v[92:93]
	v_fma_f64 v[72:73], v[72:73], s[18:19], v[102:103]
	v_add_f64 v[102:103], v[116:117], v[114:115]
	v_fma_f64 v[74:75], v[74:75], s[20:21], v[48:49]
	v_fma_f64 v[68:69], v[68:69], s[20:21], v[50:51]
	;; [unrolled: 1-line block ×8, first 2 shown]
	v_add_f64 v[10:11], v[10:11], v[74:75]
	v_add_f64 v[16:17], v[16:17], v[68:69]
	;; [unrolled: 1-line block ×7, first 2 shown]
	v_add_f64 v[74:75], v[16:17], -v[94:95]
	v_add_f64 v[76:77], v[90:91], -v[84:85]
	v_add_f64 v[68:69], v[6:7], v[0:1]
	v_add_f64 v[70:71], v[2:3], -v[4:5]
	v_add_f64 v[84:85], v[84:85], v[90:91]
	;; [unrolled: 2-line block ×4, first 2 shown]
	v_add_f64 v[0:1], v[124:125], v[106:107]
	v_add_f64 v[2:3], v[122:123], v[100:101]
	;; [unrolled: 1-line block ×5, first 2 shown]
	v_add_f64 v[86:87], v[86:87], -v[18:19]
	v_add_f64 v[4:5], v[124:125], -v[106:107]
	;; [unrolled: 1-line block ×5, first 2 shown]
	v_add_f64 v[104:105], v[112:113], v[108:109]
	v_add_f64 v[106:107], v[114:115], -v[116:117]
	v_add_f64 v[108:109], v[108:109], -v[112:113]
	v_add_f64 v[110:111], v[10:11], v[0:1]
	v_add_f64 v[112:113], v[16:17], v[2:3]
	v_add_f64 v[114:115], v[10:11], -v[0:1]
	v_add_f64 v[116:117], v[16:17], -v[2:3]
	;; [unrolled: 1-line block ×7, first 2 shown]
	v_add_f64 v[16:17], v[106:107], v[18:19]
	v_add_f64 v[120:121], v[108:109], v[100:101]
	v_add_f64 v[122:123], v[106:107], -v[18:19]
	v_add_f64 v[124:125], v[108:109], -v[100:101]
	;; [unrolled: 1-line block ×5, first 2 shown]
	v_add_f64 v[102:103], v[102:103], v[110:111]
	v_add_f64 v[104:105], v[104:105], v[112:113]
	v_mul_f64 v[0:1], v[0:1], s[26:27]
	v_mul_f64 v[110:111], v[10:11], s[6:7]
	;; [unrolled: 1-line block ×4, first 2 shown]
	v_add_f64 v[4:5], v[16:17], v[4:5]
	v_add_f64 v[6:7], v[120:121], v[6:7]
	v_mul_f64 v[120:121], v[122:123], s[22:23]
	v_mul_f64 v[122:123], v[124:125], s[22:23]
	v_mul_f64 v[124:125], v[136:137], s[4:5]
	v_mul_f64 v[140:141], v[100:101], s[4:5]
	v_add_f64 v[16:17], v[216:217], v[102:103]
	v_add_f64 v[18:19], v[218:219], v[104:105]
	v_fma_f64 v[10:11], v[10:11], s[6:7], v[0:1]
	v_fma_f64 v[110:111], v[114:115], s[14:15], -v[110:111]
	v_fma_f64 v[0:1], v[114:115], s[16:17], -v[0:1]
	v_fma_f64 v[118:119], v[118:119], s[6:7], v[2:3]
	v_fma_f64 v[112:113], v[116:117], s[14:15], -v[112:113]
	v_fma_f64 v[2:3], v[116:117], s[16:17], -v[2:3]
	v_fma_f64 v[114:115], v[106:107], s[8:9], v[120:121]
	v_fma_f64 v[116:117], v[108:109], s[8:9], v[122:123]
	v_fma_f64 v[120:121], v[136:137], s[24:25], -v[120:121]
	v_fma_f64 v[100:101], v[100:101], s[24:25], -v[122:123]
	v_fma_f64 v[106:107], v[106:107], s[18:19], v[124:125]
	v_fma_f64 v[108:109], v[108:109], s[18:19], v[140:141]
	;; [unrolled: 1-line block ×8, first 2 shown]
	v_add_f64 v[10:11], v[10:11], v[102:103]
	v_add_f64 v[122:123], v[118:119], v[104:105]
	v_add_f64 v[118:119], v[110:111], v[102:103]
	v_add_f64 v[124:125], v[112:113], v[104:105]
	v_add_f64 v[0:1], v[0:1], v[102:103]
	v_add_f64 v[2:3], v[2:3], v[104:105]
	v_fma_f64 v[112:113], v[6:7], s[2:3], v[100:101]
	v_fma_f64 v[6:7], v[6:7], s[2:3], v[108:109]
	v_add_f64 v[104:105], v[140:141], v[10:11]
	v_add_f64 v[120:121], v[10:11], -v[140:141]
	v_add_f64 v[10:11], v[126:127], v[96:97]
	v_add_f64 v[110:111], v[114:115], v[124:125]
	v_add_f64 v[114:115], v[124:125], -v[114:115]
	v_add_f64 v[102:103], v[2:3], -v[4:5]
	;; [unrolled: 1-line block ×3, first 2 shown]
	v_add_f64 v[100:101], v[6:7], v[0:1]
	v_add_f64 v[112:113], v[112:113], v[118:119]
	v_add_f64 v[116:117], v[0:1], -v[6:7]
	v_add_f64 v[118:119], v[4:5], v[2:3]
	v_add_f64 v[0:1], v[132:133], v[80:81]
	;; [unrolled: 1-line block ×3, first 2 shown]
	v_add_f64 v[4:5], v[132:133], -v[80:81]
	v_add_f64 v[80:81], v[130:131], v[142:143]
	v_add_f64 v[6:7], v[134:135], -v[146:147]
	v_add_f64 v[96:97], v[126:127], -v[96:97]
	;; [unrolled: 1-line block ×3, first 2 shown]
	v_add_f64 v[126:127], v[150:151], v[98:99]
	v_add_f64 v[130:131], v[128:129], v[138:139]
	v_add_f64 v[98:99], v[98:99], -v[150:151]
	v_add_f64 v[128:129], v[138:139], -v[128:129]
	;; [unrolled: 1-line block ×3, first 2 shown]
	v_add_f64 v[122:123], v[136:137], v[122:123]
	v_add_f64 v[150:151], v[176:177], -v[198:199]
	v_add_f64 v[132:133], v[10:11], v[0:1]
	v_add_f64 v[136:137], v[10:11], -v[0:1]
	;; [unrolled: 2-line block ×3, first 2 shown]
	v_add_f64 v[0:1], v[0:1], -v[126:127]
	v_add_f64 v[2:3], v[2:3], -v[130:131]
	;; [unrolled: 1-line block ×4, first 2 shown]
	v_add_f64 v[140:141], v[98:99], v[96:97]
	v_add_f64 v[142:143], v[128:129], v[124:125]
	v_add_f64 v[144:145], v[98:99], -v[96:97]
	v_add_f64 v[146:147], v[128:129], -v[124:125]
	;; [unrolled: 1-line block ×6, first 2 shown]
	v_add_f64 v[126:127], v[126:127], v[132:133]
	v_add_f64 v[130:131], v[130:131], v[134:135]
	v_mul_f64 v[0:1], v[0:1], s[26:27]
	v_mul_f64 v[2:3], v[2:3], s[26:27]
	;; [unrolled: 1-line block ×4, first 2 shown]
	v_add_f64 v[4:5], v[140:141], v[4:5]
	v_add_f64 v[6:7], v[142:143], v[6:7]
	v_mul_f64 v[140:141], v[144:145], s[22:23]
	v_mul_f64 v[142:143], v[146:147], s[22:23]
	;; [unrolled: 1-line block ×4, first 2 shown]
	v_add_f64 v[172:173], v[200:201], v[126:127]
	v_add_f64 v[174:175], v[202:203], v[130:131]
	v_fma_f64 v[10:11], v[10:11], s[6:7], v[0:1]
	v_fma_f64 v[80:81], v[80:81], s[6:7], v[2:3]
	v_fma_f64 v[132:133], v[136:137], s[14:15], -v[132:133]
	v_fma_f64 v[134:135], v[138:139], s[14:15], -v[134:135]
	;; [unrolled: 1-line block ×4, first 2 shown]
	v_fma_f64 v[136:137], v[98:99], s[8:9], v[140:141]
	v_fma_f64 v[138:139], v[128:129], s[8:9], v[142:143]
	v_fma_f64 v[96:97], v[96:97], s[24:25], -v[140:141]
	v_fma_f64 v[124:125], v[124:125], s[24:25], -v[142:143]
	v_fma_f64 v[98:99], v[98:99], s[18:19], v[144:145]
	v_fma_f64 v[128:129], v[128:129], s[18:19], v[146:147]
	v_fma_f64 v[126:127], v[126:127], s[20:21], v[172:173]
	v_fma_f64 v[130:131], v[130:131], s[20:21], v[174:175]
	v_fma_f64 v[146:147], v[4:5], s[2:3], v[136:137]
	v_fma_f64 v[144:145], v[6:7], s[2:3], v[138:139]
	v_fma_f64 v[96:97], v[4:5], s[2:3], v[96:97]
	v_fma_f64 v[136:137], v[6:7], s[2:3], v[124:125]
	v_fma_f64 v[4:5], v[4:5], s[2:3], v[98:99]
	v_fma_f64 v[6:7], v[6:7], s[2:3], v[128:129]
	v_add_f64 v[98:99], v[198:199], v[176:177]
	v_add_f64 v[10:11], v[10:11], v[126:127]
	v_add_f64 v[140:141], v[132:133], v[126:127]
	v_add_f64 v[0:1], v[0:1], v[126:127]
	v_add_f64 v[80:81], v[80:81], v[130:131]
	v_add_f64 v[142:143], v[134:135], v[130:131]
	v_add_f64 v[2:3], v[2:3], v[130:131]
	v_add_f64 v[128:129], v[144:145], v[10:11]
	v_add_f64 v[132:133], v[140:141], -v[136:137]
	v_add_f64 v[124:125], v[6:7], v[0:1]
	v_add_f64 v[130:131], v[80:81], -v[146:147]
	v_add_f64 v[134:135], v[96:97], v[142:143]
	;; [unrolled: 2-line block ×3, first 2 shown]
	v_add_f64 v[138:139], v[142:143], -v[96:97]
	v_add_f64 v[140:141], v[0:1], -v[6:7]
	v_add_f64 v[142:143], v[4:5], v[2:3]
	v_add_f64 v[144:145], v[10:11], -v[144:145]
	v_add_f64 v[146:147], v[146:147], v[80:81]
	v_add_f64 v[0:1], v[190:191], v[82:83]
	;; [unrolled: 1-line block ×5, first 2 shown]
	v_add_f64 v[4:5], v[190:191], -v[82:83]
	v_add_f64 v[6:7], v[178:179], -v[170:171]
	;; [unrolled: 1-line block ×4, first 2 shown]
	v_add_f64 v[154:155], v[10:11], v[0:1]
	v_add_f64 v[156:157], v[80:81], v[2:3]
	v_add_f64 v[158:159], v[10:11], -v[0:1]
	v_add_f64 v[160:161], v[80:81], -v[2:3]
	;; [unrolled: 1-line block ×6, first 2 shown]
	v_add_f64 v[162:163], v[150:151], v[82:83]
	v_add_f64 v[164:165], v[152:153], v[96:97]
	v_add_f64 v[166:167], v[150:151], -v[82:83]
	v_add_f64 v[168:169], v[152:153], -v[96:97]
	;; [unrolled: 1-line block ×6, first 2 shown]
	v_add_f64 v[98:99], v[98:99], v[154:155]
	v_add_f64 v[148:149], v[148:149], v[156:157]
	v_mul_f64 v[0:1], v[0:1], s[26:27]
	v_mul_f64 v[2:3], v[2:3], s[26:27]
	v_add_f64 v[154:155], v[162:163], v[4:5]
	v_add_f64 v[156:157], v[164:165], v[6:7]
	v_mul_f64 v[162:163], v[10:11], s[6:7]
	v_mul_f64 v[164:165], v[80:81], s[6:7]
	;; [unrolled: 1-line block ×6, first 2 shown]
	v_add_f64 v[4:5], v[212:213], v[98:99]
	v_add_f64 v[6:7], v[214:215], v[148:149]
	v_fma_f64 v[10:11], v[10:11], s[6:7], v[0:1]
	v_fma_f64 v[80:81], v[80:81], s[6:7], v[2:3]
	v_fma_f64 v[0:1], v[158:159], s[16:17], -v[0:1]
	v_fma_f64 v[2:3], v[160:161], s[16:17], -v[2:3]
	;; [unrolled: 1-line block ×4, first 2 shown]
	v_fma_f64 v[158:159], v[150:151], s[8:9], v[166:167]
	v_fma_f64 v[160:161], v[152:153], s[8:9], v[168:169]
	v_fma_f64 v[82:83], v[82:83], s[24:25], -v[166:167]
	v_fma_f64 v[96:97], v[96:97], s[24:25], -v[168:169]
	v_fma_f64 v[152:153], v[152:153], s[18:19], v[176:177]
	v_fma_f64 v[150:151], v[150:151], s[18:19], v[170:171]
	;; [unrolled: 1-line block ×9, first 2 shown]
	v_add_f64 v[10:11], v[10:11], v[98:99]
	v_add_f64 v[80:81], v[80:81], v[148:149]
	;; [unrolled: 1-line block ×5, first 2 shown]
	v_fma_f64 v[98:99], v[154:155], s[2:3], v[158:159]
	v_add_f64 v[2:3], v[2:3], v[148:149]
	v_add_f64 v[152:153], v[168:169], v[10:11]
	v_add_f64 v[168:169], v[10:11], -v[168:169]
	v_add_f64 v[156:157], v[162:163], -v[96:97]
	v_add_f64 v[158:159], v[82:83], v[164:165]
	v_add_f64 v[148:149], v[170:171], v[0:1]
	v_add_f64 v[154:155], v[80:81], -v[98:99]
	v_add_f64 v[160:161], v[96:97], v[162:163]
	v_add_f64 v[162:163], v[164:165], -v[82:83]
	v_add_f64 v[164:165], v[0:1], -v[170:171]
	v_add_f64 v[170:171], v[98:99], v[80:81]
	s_clause 0x17
	buffer_load_dword v10, off, s[36:39], 0 offset:892
	buffer_load_dword v11, off, s[36:39], 0 offset:896
	;; [unrolled: 1-line block ×24, first 2 shown]
	v_add_f64 v[150:151], v[2:3], -v[166:167]
	v_add_f64 v[166:167], v[166:167], v[2:3]
	s_waitcnt vmcnt(20)
	v_add_f64 v[0:1], v[10:11], v[82:83]
	s_waitcnt vmcnt(16)
	v_add_f64 v[2:3], v[80:81], v[96:97]
	v_add_f64 v[10:11], v[10:11], -v[82:83]
	v_add_f64 v[80:81], v[80:81], -v[96:97]
	s_waitcnt vmcnt(12)
	v_add_f64 v[82:83], v[98:99], v[178:179]
	s_waitcnt vmcnt(8)
	v_add_f64 v[96:97], v[176:177], v[188:189]
	v_add_f64 v[98:99], v[98:99], -v[178:179]
	v_add_f64 v[176:177], v[176:177], -v[188:189]
	;; [unrolled: 6-line block ×3, first 2 shown]
	v_add_f64 v[194:195], v[82:83], v[0:1]
	v_add_f64 v[198:199], v[96:97], v[2:3]
	v_add_f64 v[200:201], v[82:83], -v[0:1]
	v_add_f64 v[202:203], v[96:97], -v[2:3]
	;; [unrolled: 1-line block ×4, first 2 shown]
	v_add_f64 v[0:1], v[190:191], v[98:99]
	v_add_f64 v[2:3], v[192:193], v[176:177]
	v_add_f64 v[210:211], v[190:191], -v[98:99]
	v_add_f64 v[212:213], v[192:193], -v[176:177]
	;; [unrolled: 1-line block ×8, first 2 shown]
	v_add_f64 v[178:179], v[178:179], v[194:195]
	v_add_f64 v[188:189], v[188:189], v[198:199]
	v_mul_f64 v[194:195], v[206:207], s[26:27]
	v_mul_f64 v[198:199], v[208:209], s[26:27]
	v_add_f64 v[10:11], v[0:1], v[10:11]
	v_add_f64 v[80:81], v[2:3], v[80:81]
	s_clause 0x3
	buffer_load_dword v0, off, s[36:39], 0 offset:1004
	buffer_load_dword v1, off, s[36:39], 0 offset:1008
	;; [unrolled: 1-line block ×4, first 2 shown]
	v_mul_f64 v[210:211], v[210:211], s[22:23]
	v_mul_f64 v[212:213], v[212:213], s[22:23]
	s_waitcnt vmcnt(0)
	s_waitcnt_vscnt null, 0x0
	v_mul_f64 v[214:215], v[98:99], s[4:5]
	v_mul_f64 v[216:217], v[176:177], s[4:5]
	;; [unrolled: 1-line block ×4, first 2 shown]
	s_barrier
	buffer_gl0_inv
	ds_write_b128 v196, v[12:15]
	ds_write_b128 v196, v[20:23] offset:784
	ds_write_b128 v196, v[180:183] offset:1568
	;; [unrolled: 1-line block ×13, first 2 shown]
	v_fma_f64 v[82:83], v[82:83], s[6:7], v[194:195]
	v_fma_f64 v[96:97], v[96:97], s[6:7], v[198:199]
	v_fma_f64 v[194:195], v[200:201], s[16:17], -v[194:195]
	v_fma_f64 v[198:199], v[202:203], s[16:17], -v[198:199]
	;; [unrolled: 1-line block ×6, first 2 shown]
	v_fma_f64 v[200:201], v[190:191], s[8:9], v[210:211]
	v_fma_f64 v[202:203], v[192:193], s[8:9], v[212:213]
	;; [unrolled: 1-line block ×9, first 2 shown]
	v_add_f64 v[0:1], v[0:1], v[178:179]
	v_add_f64 v[2:3], v[2:3], v[188:189]
	v_fma_f64 v[178:179], v[178:179], s[20:21], v[0:1]
	v_fma_f64 v[188:189], v[188:189], s[20:21], v[2:3]
	v_add_f64 v[194:195], v[194:195], v[178:179]
	v_add_f64 v[198:199], v[198:199], v[188:189]
	;; [unrolled: 1-line block ×6, first 2 shown]
	v_fma_f64 v[188:189], v[80:81], s[2:3], v[176:177]
	v_add_f64 v[96:97], v[192:193], v[194:195]
	v_add_f64 v[98:99], v[198:199], -v[10:11]
	v_add_f64 v[192:193], v[194:195], -v[192:193]
	v_add_f64 v[194:195], v[10:11], v[198:199]
	v_lshlrev_b32_e32 v10, 4, v220
	v_add_f64 v[80:81], v[202:203], v[210:211]
	v_add_f64 v[82:83], v[212:213], -v[200:201]
	v_add_f64 v[176:177], v[206:207], -v[188:189]
	v_add_f64 v[178:179], v[214:215], v[208:209]
	buffer_store_dword v10, off, s[36:39], 0 offset:2744 ; 4-byte Folded Spill
	ds_write_b128 v10, v[48:51] offset:10976
	ds_write_b128 v10, v[72:75] offset:11760
	;; [unrolled: 1-line block ×7, first 2 shown]
	v_lshlrev_b32_e32 v10, 4, v221
	v_add_f64 v[188:189], v[188:189], v[206:207]
	v_add_f64 v[190:191], v[208:209], -v[214:215]
	v_add_f64 v[198:199], v[210:211], -v[202:203]
	v_add_f64 v[200:201], v[200:201], v[212:213]
	buffer_store_dword v10, off, s[36:39], 0 offset:2444 ; 4-byte Folded Spill
	ds_write_b128 v10, v[16:19] offset:16464
	ds_write_b128 v10, v[104:107] offset:17248
	;; [unrolled: 1-line block ×7, first 2 shown]
	v_lshlrev_b32_e32 v10, 4, v222
	v_mov_b32_e32 v11, 4
	buffer_store_dword v10, off, s[36:39], 0 offset:1888 ; 4-byte Folded Spill
	ds_write_b128 v10, v[172:175] offset:21952
	ds_write_b128 v10, v[128:131] offset:22736
	ds_write_b128 v10, v[124:127] offset:23520
	ds_write_b128 v10, v[132:135] offset:24304
	ds_write_b128 v10, v[136:139] offset:25088
	ds_write_b128 v10, v[140:143] offset:25872
	ds_write_b128 v10, v[144:147] offset:26656
	v_lshlrev_b32_sdwa v10, v11, v205 dst_sel:DWORD dst_unused:UNUSED_PAD src0_sel:DWORD src1_sel:WORD_0
	buffer_store_dword v10, off, s[36:39], 0 offset:1136 ; 4-byte Folded Spill
	ds_write_b128 v10, v[4:7] offset:27440
	ds_write_b128 v10, v[152:155] offset:28224
	;; [unrolled: 1-line block ×7, first 2 shown]
	v_lshlrev_b32_sdwa v4, v11, v223 dst_sel:DWORD dst_unused:UNUSED_PAD src0_sel:DWORD src1_sel:WORD_0
	buffer_store_dword v4, off, s[36:39], 0 offset:796 ; 4-byte Folded Spill
	ds_write_b128 v4, v[0:3] offset:32928
	ds_write_b128 v4, v[80:83] offset:33712
	;; [unrolled: 1-line block ×7, first 2 shown]
	v_add_co_u32 v0, vcc_lo, 0x1500, v8
	v_add_co_ci_u32_e32 v1, vcc_lo, 0, v9, vcc_lo
	v_add_co_u32 v2, vcc_lo, 0x1000, v8
	v_add_co_ci_u32_e32 v3, vcc_lo, 0, v9, vcc_lo
	s_waitcnt lgkmcnt(0)
	s_waitcnt_vscnt null, 0x0
	s_barrier
	buffer_gl0_inv
	ds_read_b128 v[200:203], v196
	ds_read_b128 v[192:195], v196 offset:5488
	ds_read_b128 v[188:191], v196 offset:10976
	;; [unrolled: 1-line block ×48, first 2 shown]
	global_load_dwordx4 v[14:17], v[2:3], off offset:1280
	s_waitcnt vmcnt(0)
	buffer_store_dword v14, off, s[36:39], 0 offset:812 ; 4-byte Folded Spill
	buffer_store_dword v15, off, s[36:39], 0 offset:816 ; 4-byte Folded Spill
	buffer_store_dword v16, off, s[36:39], 0 offset:820 ; 4-byte Folded Spill
	buffer_store_dword v17, off, s[36:39], 0 offset:824 ; 4-byte Folded Spill
	s_clause 0x2
	global_load_dwordx4 v[4:7], v[0:1], off offset:48
	global_load_dwordx4 v[10:13], v[0:1], off offset:32
	;; [unrolled: 1-line block ×3, first 2 shown]
	s_waitcnt vmcnt(0)
	buffer_store_dword v64, off, s[36:39], 0 offset:828 ; 4-byte Folded Spill
	buffer_store_dword v65, off, s[36:39], 0 offset:832 ; 4-byte Folded Spill
	buffer_store_dword v66, off, s[36:39], 0 offset:836 ; 4-byte Folded Spill
	buffer_store_dword v67, off, s[36:39], 0 offset:840 ; 4-byte Folded Spill
	buffer_store_dword v10, off, s[36:39], 0 offset:844 ; 4-byte Folded Spill
	buffer_store_dword v11, off, s[36:39], 0 offset:848 ; 4-byte Folded Spill
	buffer_store_dword v12, off, s[36:39], 0 offset:852 ; 4-byte Folded Spill
	buffer_store_dword v13, off, s[36:39], 0 offset:856 ; 4-byte Folded Spill
	buffer_store_dword v4, off, s[36:39], 0 offset:860 ; 4-byte Folded Spill
	buffer_store_dword v5, off, s[36:39], 0 offset:864 ; 4-byte Folded Spill
	buffer_store_dword v6, off, s[36:39], 0 offset:868 ; 4-byte Folded Spill
	buffer_store_dword v7, off, s[36:39], 0 offset:872 ; 4-byte Folded Spill
	s_waitcnt lgkmcnt(47)
	v_mul_f64 v[0:1], v[194:195], v[16:17]
	v_fma_f64 v[212:213], v[192:193], v[14:15], -v[0:1]
	v_mul_f64 v[0:1], v[192:193], v[16:17]
	v_fma_f64 v[32:33], v[194:195], v[14:15], v[0:1]
	s_waitcnt lgkmcnt(46)
	v_mul_f64 v[0:1], v[190:191], v[66:67]
	v_fma_f64 v[16:17], v[188:189], v[64:65], -v[0:1]
	v_mul_f64 v[0:1], v[188:189], v[66:67]
	v_fma_f64 v[14:15], v[190:191], v[64:65], v[0:1]
	;; [unrolled: 5-line block ×4, first 2 shown]
	global_load_dwordx4 v[2:5], v[2:3], off offset:1344
	v_add_co_u32 v0, vcc_lo, 0x1540, v8
	v_add_co_ci_u32_e32 v1, vcc_lo, 0, v9, vcc_lo
	s_waitcnt vmcnt(0)
	buffer_store_dword v2, off, s[36:39], 0 offset:876 ; 4-byte Folded Spill
	buffer_store_dword v3, off, s[36:39], 0 offset:880 ; 4-byte Folded Spill
	buffer_store_dword v4, off, s[36:39], 0 offset:884 ; 4-byte Folded Spill
	buffer_store_dword v5, off, s[36:39], 0 offset:888 ; 4-byte Folded Spill
	global_load_dwordx4 v[64:67], v[0:1], off offset:16
	s_waitcnt vmcnt(0)
	buffer_store_dword v64, off, s[36:39], 0 offset:892 ; 4-byte Folded Spill
	buffer_store_dword v65, off, s[36:39], 0 offset:896 ; 4-byte Folded Spill
	;; [unrolled: 1-line block ×4, first 2 shown]
	s_waitcnt lgkmcnt(43)
	v_mul_f64 v[0:1], v[178:179], v[4:5]
	v_fma_f64 v[8:9], v[176:177], v[2:3], -v[0:1]
	v_mul_f64 v[0:1], v[176:177], v[4:5]
	v_fma_f64 v[6:7], v[178:179], v[2:3], v[0:1]
	s_waitcnt lgkmcnt(42)
	v_mul_f64 v[0:1], v[174:175], v[66:67]
	v_fma_f64 v[4:5], v[172:173], v[64:65], -v[0:1]
	v_mul_f64 v[0:1], v[172:173], v[66:67]
	v_fma_f64 v[2:3], v[174:175], v[64:65], v[0:1]
	buffer_load_dword v0, off, s[36:39], 0 offset:924 ; 4-byte Folded Reload
	s_waitcnt vmcnt(0)
	v_mad_u64_u32 v[0:1], null, 0x60, v0, s[10:11]
	v_add_co_u32 v34, vcc_lo, 0x1500, v0
	v_add_co_ci_u32_e32 v35, vcc_lo, 0, v1, vcc_lo
	v_add_co_u32 v64, vcc_lo, 0x1000, v0
	v_add_co_ci_u32_e32 v65, vcc_lo, 0, v1, vcc_lo
	s_clause 0x3
	global_load_dwordx4 v[186:189], v[64:65], off offset:1280
	global_load_dwordx4 v[174:177], v[34:35], off offset:48
	;; [unrolled: 1-line block ×4, first 2 shown]
	s_waitcnt vmcnt(3)
	buffer_store_dword v186, off, s[36:39], 0 offset:924 ; 4-byte Folded Spill
	buffer_store_dword v187, off, s[36:39], 0 offset:928 ; 4-byte Folded Spill
	;; [unrolled: 1-line block ×4, first 2 shown]
	s_waitcnt vmcnt(0)
	buffer_store_dword v182, off, s[36:39], 0 offset:972 ; 4-byte Folded Spill
	buffer_store_dword v183, off, s[36:39], 0 offset:976 ; 4-byte Folded Spill
	;; [unrolled: 1-line block ×12, first 2 shown]
	global_load_dwordx4 v[64:67], v[64:65], off offset:1344
	s_waitcnt vmcnt(0)
	buffer_store_dword v64, off, s[36:39], 0 offset:1084 ; 4-byte Folded Spill
	buffer_store_dword v65, off, s[36:39], 0 offset:1088 ; 4-byte Folded Spill
	;; [unrolled: 1-line block ×4, first 2 shown]
	s_waitcnt lgkmcnt(40)
	v_mul_f64 v[34:35], v[170:171], v[188:189]
	v_fma_f64 v[172:173], v[168:169], v[186:187], -v[34:35]
	v_mul_f64 v[34:35], v[168:169], v[188:189]
	v_fma_f64 v[168:169], v[170:171], v[186:187], v[34:35]
	s_waitcnt lgkmcnt(39)
	v_mul_f64 v[34:35], v[166:167], v[184:185]
	v_fma_f64 v[250:251], v[164:165], v[182:183], -v[34:35]
	v_mul_f64 v[34:35], v[164:165], v[184:185]
	v_fma_f64 v[164:165], v[166:167], v[182:183], v[34:35]
	;; [unrolled: 5-line block ×4, first 2 shown]
	v_add_co_u32 v34, vcc_lo, 0x1540, v0
	v_add_co_ci_u32_e32 v35, vcc_lo, 0, v1, vcc_lo
	global_load_dwordx4 v[174:177], v[34:35], off offset:16
	s_waitcnt vmcnt(0)
	buffer_store_dword v174, off, s[36:39], 0 offset:1100 ; 4-byte Folded Spill
	buffer_store_dword v175, off, s[36:39], 0 offset:1104 ; 4-byte Folded Spill
	;; [unrolled: 1-line block ×4, first 2 shown]
	s_waitcnt lgkmcnt(36)
	v_mul_f64 v[34:35], v[154:155], v[66:67]
	v_fma_f64 v[156:157], v[152:153], v[64:65], -v[34:35]
	v_mul_f64 v[34:35], v[152:153], v[66:67]
	v_fma_f64 v[66:67], v[154:155], v[64:65], v[34:35]
	s_waitcnt lgkmcnt(35)
	v_mul_f64 v[34:35], v[150:151], v[176:177]
	v_fma_f64 v[64:65], v[148:149], v[174:175], -v[34:35]
	v_mul_f64 v[34:35], v[148:149], v[176:177]
	v_add_co_u32 v148, vcc_lo, 0x2760, v0
	v_add_co_ci_u32_e32 v149, vcc_lo, 0, v1, vcc_lo
	v_fma_f64 v[34:35], v[150:151], v[174:175], v[34:35]
	v_add_co_u32 v150, vcc_lo, 0x2000, v0
	v_add_co_ci_u32_e32 v151, vcc_lo, 0, v1, vcc_lo
	s_clause 0x3
	global_load_dwordx4 v[182:185], v[150:151], off offset:1888
	global_load_dwordx4 v[152:155], v[148:149], off offset:48
	;; [unrolled: 1-line block ×4, first 2 shown]
	s_waitcnt vmcnt(3)
	buffer_store_dword v182, off, s[36:39], 0 offset:1192 ; 4-byte Folded Spill
	buffer_store_dword v183, off, s[36:39], 0 offset:1196 ; 4-byte Folded Spill
	;; [unrolled: 1-line block ×4, first 2 shown]
	s_waitcnt vmcnt(0)
	buffer_store_dword v178, off, s[36:39], 0 offset:1208 ; 4-byte Folded Spill
	buffer_store_dword v179, off, s[36:39], 0 offset:1212 ; 4-byte Folded Spill
	;; [unrolled: 1-line block ×12, first 2 shown]
	s_waitcnt lgkmcnt(33)
	v_mul_f64 v[148:149], v[146:147], v[184:185]
	v_fma_f64 v[148:149], v[144:145], v[182:183], -v[148:149]
	v_mul_f64 v[144:145], v[144:145], v[184:185]
	v_fma_f64 v[144:145], v[146:147], v[182:183], v[144:145]
	s_waitcnt lgkmcnt(32)
	v_mul_f64 v[146:147], v[142:143], v[180:181]
	v_fma_f64 v[146:147], v[140:141], v[178:179], -v[146:147]
	v_mul_f64 v[140:141], v[140:141], v[180:181]
	v_fma_f64 v[140:141], v[142:143], v[178:179], v[140:141]
	;; [unrolled: 5-line block ×4, first 2 shown]
	v_add_co_u32 v134, vcc_lo, 0x27a0, v0
	v_add_co_ci_u32_e32 v135, vcc_lo, 0, v1, vcc_lo
	s_clause 0x1
	global_load_dwordx4 v[174:177], v[150:151], off offset:1952
	global_load_dwordx4 v[150:153], v[134:135], off offset:16
	s_waitcnt vmcnt(1) lgkmcnt(29)
	v_mul_f64 v[134:135], v[130:131], v[176:177]
	v_fma_f64 v[238:239], v[128:129], v[174:175], -v[134:135]
	buffer_store_dword v174, off, s[36:39], 0 offset:1336 ; 4-byte Folded Spill
	buffer_store_dword v175, off, s[36:39], 0 offset:1340 ; 4-byte Folded Spill
	buffer_store_dword v176, off, s[36:39], 0 offset:1344 ; 4-byte Folded Spill
	buffer_store_dword v177, off, s[36:39], 0 offset:1348 ; 4-byte Folded Spill
	s_waitcnt vmcnt(0)
	buffer_store_dword v150, off, s[36:39], 0 offset:1352 ; 4-byte Folded Spill
	buffer_store_dword v151, off, s[36:39], 0 offset:1356 ; 4-byte Folded Spill
	;; [unrolled: 1-line block ×4, first 2 shown]
	v_mul_f64 v[128:129], v[128:129], v[176:177]
	v_fma_f64 v[130:131], v[130:131], v[174:175], v[128:129]
	s_waitcnt lgkmcnt(28)
	v_mul_f64 v[128:129], v[126:127], v[152:153]
	v_fma_f64 v[128:129], v[124:125], v[150:151], -v[128:129]
	v_mul_f64 v[124:125], v[124:125], v[152:153]
	v_fma_f64 v[124:125], v[126:127], v[150:151], v[124:125]
	v_add_co_u32 v126, vcc_lo, 0x39c0, v0
	v_add_co_ci_u32_e32 v127, vcc_lo, 0, v1, vcc_lo
	v_add_co_u32 v134, vcc_lo, 0x3800, v0
	v_add_co_ci_u32_e32 v135, vcc_lo, 0, v1, vcc_lo
	s_clause 0x3
	global_load_dwordx4 v[182:185], v[134:135], off offset:448
	global_load_dwordx4 v[150:153], v[126:127], off offset:48
	;; [unrolled: 1-line block ×4, first 2 shown]
	s_waitcnt vmcnt(3)
	buffer_store_dword v182, off, s[36:39], 0 offset:1432 ; 4-byte Folded Spill
	buffer_store_dword v183, off, s[36:39], 0 offset:1436 ; 4-byte Folded Spill
	;; [unrolled: 1-line block ×4, first 2 shown]
	s_waitcnt vmcnt(0)
	buffer_store_dword v178, off, s[36:39], 0 offset:1448 ; 4-byte Folded Spill
	buffer_store_dword v179, off, s[36:39], 0 offset:1452 ; 4-byte Folded Spill
	;; [unrolled: 1-line block ×12, first 2 shown]
	s_waitcnt lgkmcnt(26)
	v_mul_f64 v[126:127], v[122:123], v[184:185]
	v_fma_f64 v[126:127], v[120:121], v[182:183], -v[126:127]
	v_mul_f64 v[120:121], v[120:121], v[184:185]
	v_fma_f64 v[120:121], v[122:123], v[182:183], v[120:121]
	s_waitcnt lgkmcnt(25)
	v_mul_f64 v[122:123], v[118:119], v[180:181]
	v_fma_f64 v[122:123], v[116:117], v[178:179], -v[122:123]
	v_mul_f64 v[116:117], v[116:117], v[180:181]
	v_fma_f64 v[118:119], v[118:119], v[178:179], v[116:117]
	;; [unrolled: 5-line block ×4, first 2 shown]
	v_add_co_u32 v110, vcc_lo, 0x3a00, v0
	v_add_co_ci_u32_e32 v111, vcc_lo, 0, v1, vcc_lo
	s_clause 0x1
	global_load_dwordx4 v[174:177], v[134:135], off offset:512
	global_load_dwordx4 v[150:153], v[110:111], off offset:16
	s_waitcnt vmcnt(1) lgkmcnt(22)
	v_mul_f64 v[110:111], v[106:107], v[176:177]
	v_fma_f64 v[110:111], v[104:105], v[174:175], -v[110:111]
	buffer_store_dword v174, off, s[36:39], 0 offset:1528 ; 4-byte Folded Spill
	buffer_store_dword v175, off, s[36:39], 0 offset:1532 ; 4-byte Folded Spill
	;; [unrolled: 1-line block ×4, first 2 shown]
	s_waitcnt vmcnt(0)
	buffer_store_dword v150, off, s[36:39], 0 offset:1560 ; 4-byte Folded Spill
	buffer_store_dword v151, off, s[36:39], 0 offset:1564 ; 4-byte Folded Spill
	;; [unrolled: 1-line block ×4, first 2 shown]
	v_mul_f64 v[104:105], v[104:105], v[176:177]
	v_fma_f64 v[104:105], v[106:107], v[174:175], v[104:105]
	s_waitcnt lgkmcnt(21)
	v_mul_f64 v[106:107], v[102:103], v[152:153]
	v_fma_f64 v[106:107], v[100:101], v[150:151], -v[106:107]
	v_mul_f64 v[100:101], v[100:101], v[152:153]
	v_fma_f64 v[100:101], v[102:103], v[150:151], v[100:101]
	v_add_co_u32 v102, vcc_lo, 0x4c20, v0
	v_add_co_ci_u32_e32 v103, vcc_lo, 0, v1, vcc_lo
	v_add_co_u32 v134, vcc_lo, 0x4800, v0
	v_add_co_ci_u32_e32 v135, vcc_lo, 0, v1, vcc_lo
	s_clause 0x3
	global_load_dwordx4 v[188:191], v[134:135], off offset:1056
	global_load_dwordx4 v[150:153], v[102:103], off offset:48
	global_load_dwordx4 v[184:187], v[102:103], off offset:32
	global_load_dwordx4 v[180:183], v[102:103], off offset:16
	s_waitcnt vmcnt(3)
	buffer_store_dword v188, off, s[36:39], 0 offset:1724 ; 4-byte Folded Spill
	buffer_store_dword v189, off, s[36:39], 0 offset:1728 ; 4-byte Folded Spill
	buffer_store_dword v190, off, s[36:39], 0 offset:1732 ; 4-byte Folded Spill
	buffer_store_dword v191, off, s[36:39], 0 offset:1736 ; 4-byte Folded Spill
	s_waitcnt lgkmcnt(19)
	v_mul_f64 v[102:103], v[98:99], v[190:191]
	v_fma_f64 v[178:179], v[96:97], v[188:189], -v[102:103]
	v_mul_f64 v[96:97], v[96:97], v[190:191]
	v_add_f64 v[102:103], v[108:109], -v[112:113]
	v_fma_f64 v[176:177], v[98:99], v[188:189], v[96:97]
	s_waitcnt vmcnt(0)
	v_mov_b32_e32 v191, v183
	v_mov_b32_e32 v190, v182
	;; [unrolled: 1-line block ×4, first 2 shown]
	buffer_store_dword v188, off, s[36:39], 0 offset:1740 ; 4-byte Folded Spill
	buffer_store_dword v189, off, s[36:39], 0 offset:1744 ; 4-byte Folded Spill
	;; [unrolled: 1-line block ×4, first 2 shown]
	s_waitcnt lgkmcnt(18)
	v_mul_f64 v[96:97], v[94:95], v[190:191]
	v_fma_f64 v[182:183], v[92:93], v[188:189], -v[96:97]
	v_mul_f64 v[92:93], v[92:93], v[190:191]
	v_fma_f64 v[180:181], v[94:95], v[188:189], v[92:93]
	v_mov_b32_e32 v94, v184
	v_mov_b32_e32 v95, v185
	;; [unrolled: 1-line block ×4, first 2 shown]
	buffer_store_dword v94, off, s[36:39], 0 offset:1772 ; 4-byte Folded Spill
	buffer_store_dword v95, off, s[36:39], 0 offset:1776 ; 4-byte Folded Spill
	;; [unrolled: 1-line block ×8, first 2 shown]
	s_waitcnt lgkmcnt(17)
	v_mul_f64 v[92:93], v[90:91], v[96:97]
	v_fma_f64 v[186:187], v[88:89], v[94:95], -v[92:93]
	v_mul_f64 v[88:89], v[88:89], v[96:97]
	v_fma_f64 v[184:185], v[90:91], v[94:95], v[88:89]
	s_waitcnt lgkmcnt(16)
	v_mul_f64 v[88:89], v[86:87], v[152:153]
	v_fma_f64 v[174:175], v[84:85], v[150:151], -v[88:89]
	v_mul_f64 v[84:85], v[84:85], v[152:153]
	v_fma_f64 v[170:171], v[86:87], v[150:151], v[84:85]
	v_add_co_u32 v84, vcc_lo, 0x4c60, v0
	v_add_co_ci_u32_e32 v85, vcc_lo, 0, v1, vcc_lo
	s_clause 0x1
	global_load_dwordx4 v[90:93], v[134:135], off offset:1120
	global_load_dwordx4 v[86:89], v[84:85], off offset:16
	s_waitcnt vmcnt(1) lgkmcnt(15)
	v_mul_f64 v[84:85], v[82:83], v[92:93]
	v_fma_f64 v[154:155], v[80:81], v[90:91], -v[84:85]
	buffer_store_dword v90, off, s[36:39], 0 offset:1872 ; 4-byte Folded Spill
	buffer_store_dword v91, off, s[36:39], 0 offset:1876 ; 4-byte Folded Spill
	;; [unrolled: 1-line block ×4, first 2 shown]
	s_waitcnt vmcnt(0)
	buffer_store_dword v86, off, s[36:39], 0 offset:1908 ; 4-byte Folded Spill
	buffer_store_dword v87, off, s[36:39], 0 offset:1912 ; 4-byte Folded Spill
	buffer_store_dword v88, off, s[36:39], 0 offset:1916 ; 4-byte Folded Spill
	buffer_store_dword v89, off, s[36:39], 0 offset:1920 ; 4-byte Folded Spill
	v_mul_f64 v[80:81], v[80:81], v[92:93]
	v_fma_f64 v[152:153], v[82:83], v[90:91], v[80:81]
	s_waitcnt lgkmcnt(14)
	v_mul_f64 v[80:81], v[78:79], v[88:89]
	v_fma_f64 v[150:151], v[76:77], v[86:87], -v[80:81]
	v_mul_f64 v[76:77], v[76:77], v[88:89]
	v_fma_f64 v[134:135], v[78:79], v[86:87], v[76:77]
	v_add_co_u32 v76, vcc_lo, 0x5e80, v0
	v_add_co_ci_u32_e32 v77, vcc_lo, 0, v1, vcc_lo
	v_add_co_u32 v78, vcc_lo, 0x5800, v0
	v_add_co_ci_u32_e32 v79, vcc_lo, 0, v1, vcc_lo
	s_clause 0x3
	global_load_dwordx4 v[92:95], v[78:79], off offset:1664
	global_load_dwordx4 v[80:83], v[76:77], off offset:48
	;; [unrolled: 1-line block ×4, first 2 shown]
	s_waitcnt vmcnt(3)
	buffer_store_dword v92, off, s[36:39], 0 offset:2020 ; 4-byte Folded Spill
	buffer_store_dword v93, off, s[36:39], 0 offset:2024 ; 4-byte Folded Spill
	;; [unrolled: 1-line block ×4, first 2 shown]
	s_waitcnt lgkmcnt(12)
	v_mul_f64 v[76:77], v[74:75], v[94:95]
	v_fma_f64 v[76:77], v[72:73], v[92:93], -v[76:77]
	v_mul_f64 v[72:73], v[72:73], v[94:95]
	buffer_store_dword v76, off, s[36:39], 0 offset:2876 ; 4-byte Folded Spill
	buffer_store_dword v77, off, s[36:39], 0 offset:2880 ; 4-byte Folded Spill
	v_fma_f64 v[72:73], v[74:75], v[92:93], v[72:73]
	buffer_store_dword v72, off, s[36:39], 0 offset:2884 ; 4-byte Folded Spill
	buffer_store_dword v73, off, s[36:39], 0 offset:2888 ; 4-byte Folded Spill
	s_waitcnt vmcnt(0)
	buffer_store_dword v88, off, s[36:39], 0 offset:2068 ; 4-byte Folded Spill
	buffer_store_dword v89, off, s[36:39], 0 offset:2072 ; 4-byte Folded Spill
	;; [unrolled: 1-line block ×4, first 2 shown]
	s_waitcnt lgkmcnt(11)
	v_mul_f64 v[72:73], v[70:71], v[90:91]
	v_fma_f64 v[72:73], v[68:69], v[88:89], -v[72:73]
	v_mul_f64 v[68:69], v[68:69], v[90:91]
	buffer_store_dword v72, off, s[36:39], 0 offset:2892 ; 4-byte Folded Spill
	buffer_store_dword v73, off, s[36:39], 0 offset:2896 ; 4-byte Folded Spill
	v_fma_f64 v[68:69], v[70:71], v[88:89], v[68:69]
	buffer_store_dword v68, off, s[36:39], 0 offset:2900 ; 4-byte Folded Spill
	buffer_store_dword v69, off, s[36:39], 0 offset:2904 ; 4-byte Folded Spill
	;; [unrolled: 1-line block ×6, first 2 shown]
	s_waitcnt lgkmcnt(10)
	v_mul_f64 v[68:69], v[62:63], v[86:87]
	v_fma_f64 v[68:69], v[60:61], v[84:85], -v[68:69]
	v_mul_f64 v[60:61], v[60:61], v[86:87]
	buffer_store_dword v68, off, s[36:39], 0 offset:2860 ; 4-byte Folded Spill
	buffer_store_dword v69, off, s[36:39], 0 offset:2864 ; 4-byte Folded Spill
	v_fma_f64 v[60:61], v[62:63], v[84:85], v[60:61]
	buffer_store_dword v60, off, s[36:39], 0 offset:2868 ; 4-byte Folded Spill
	buffer_store_dword v61, off, s[36:39], 0 offset:2872 ; 4-byte Folded Spill
	;; [unrolled: 1-line block ×6, first 2 shown]
	s_waitcnt lgkmcnt(9)
	v_mul_f64 v[60:61], v[58:59], v[82:83]
	v_fma_f64 v[244:245], v[56:57], v[80:81], -v[60:61]
	v_mul_f64 v[56:57], v[56:57], v[82:83]
	v_fma_f64 v[236:237], v[58:59], v[80:81], v[56:57]
	v_add_co_u32 v56, vcc_lo, 0x5ec0, v0
	v_add_co_ci_u32_e32 v57, vcc_lo, 0, v1, vcc_lo
	s_clause 0x1
	global_load_dwordx4 v[68:71], v[78:79], off offset:1728
	global_load_dwordx4 v[58:61], v[56:57], off offset:16
	s_waitcnt vmcnt(1) lgkmcnt(8)
	v_mul_f64 v[56:57], v[54:55], v[70:71]
	v_fma_f64 v[194:195], v[52:53], v[68:69], -v[56:57]
	buffer_store_dword v68, off, s[36:39], 0 offset:2180 ; 4-byte Folded Spill
	buffer_store_dword v69, off, s[36:39], 0 offset:2184 ; 4-byte Folded Spill
	;; [unrolled: 1-line block ×4, first 2 shown]
	s_waitcnt vmcnt(0)
	buffer_store_dword v58, off, s[36:39], 0 offset:2196 ; 4-byte Folded Spill
	buffer_store_dword v59, off, s[36:39], 0 offset:2200 ; 4-byte Folded Spill
	buffer_store_dword v60, off, s[36:39], 0 offset:2204 ; 4-byte Folded Spill
	buffer_store_dword v61, off, s[36:39], 0 offset:2208 ; 4-byte Folded Spill
	v_mul_f64 v[52:53], v[52:53], v[70:71]
	v_fma_f64 v[192:193], v[54:55], v[68:69], v[52:53]
	s_waitcnt lgkmcnt(7)
	v_mul_f64 v[52:53], v[50:51], v[60:61]
	v_fma_f64 v[190:191], v[48:49], v[58:59], -v[52:53]
	v_mul_f64 v[48:49], v[48:49], v[60:61]
	v_fma_f64 v[188:189], v[50:51], v[58:59], v[48:49]
	v_add_co_u32 v48, vcc_lo, 0x70e0, v0
	v_add_co_ci_u32_e32 v49, vcc_lo, 0, v1, vcc_lo
	v_add_co_u32 v50, vcc_lo, 0x7000, v0
	v_add_co_ci_u32_e32 v51, vcc_lo, 0, v1, vcc_lo
	s_clause 0x3
	global_load_dwordx4 v[68:71], v[50:51], off offset:224
	global_load_dwordx4 v[52:55], v[48:49], off offset:48
	;; [unrolled: 1-line block ×4, first 2 shown]
	s_waitcnt vmcnt(3)
	buffer_store_dword v68, off, s[36:39], 0 offset:2248 ; 4-byte Folded Spill
	buffer_store_dword v69, off, s[36:39], 0 offset:2252 ; 4-byte Folded Spill
	;; [unrolled: 1-line block ×4, first 2 shown]
	v_add_co_u32 v0, vcc_lo, 0x7120, v0
	v_add_co_ci_u32_e32 v1, vcc_lo, 0, v1, vcc_lo
	s_waitcnt lgkmcnt(5)
	v_mul_f64 v[48:49], v[46:47], v[70:71]
	v_fma_f64 v[48:49], v[44:45], v[68:69], -v[48:49]
	v_mul_f64 v[44:45], v[44:45], v[70:71]
	buffer_store_dword v48, off, s[36:39], 0 offset:2812 ; 4-byte Folded Spill
	buffer_store_dword v49, off, s[36:39], 0 offset:2816 ; 4-byte Folded Spill
	v_fma_f64 v[44:45], v[46:47], v[68:69], v[44:45]
	buffer_store_dword v44, off, s[36:39], 0 offset:2820 ; 4-byte Folded Spill
	buffer_store_dword v45, off, s[36:39], 0 offset:2824 ; 4-byte Folded Spill
	s_waitcnt vmcnt(0)
	buffer_store_dword v60, off, s[36:39], 0 offset:2264 ; 4-byte Folded Spill
	buffer_store_dword v61, off, s[36:39], 0 offset:2268 ; 4-byte Folded Spill
	;; [unrolled: 1-line block ×4, first 2 shown]
	s_waitcnt lgkmcnt(4)
	v_mul_f64 v[44:45], v[42:43], v[62:63]
	v_fma_f64 v[44:45], v[40:41], v[60:61], -v[44:45]
	v_mul_f64 v[40:41], v[40:41], v[62:63]
	buffer_store_dword v44, off, s[36:39], 0 offset:2780 ; 4-byte Folded Spill
	buffer_store_dword v45, off, s[36:39], 0 offset:2784 ; 4-byte Folded Spill
	v_fma_f64 v[40:41], v[42:43], v[60:61], v[40:41]
	buffer_store_dword v40, off, s[36:39], 0 offset:2788 ; 4-byte Folded Spill
	buffer_store_dword v41, off, s[36:39], 0 offset:2792 ; 4-byte Folded Spill
	;; [unrolled: 1-line block ×10, first 2 shown]
	s_waitcnt lgkmcnt(3)
	v_mul_f64 v[40:41], v[38:39], v[58:59]
	v_fma_f64 v[198:199], v[36:37], v[56:57], -v[40:41]
	v_mul_f64 v[36:37], v[36:37], v[58:59]
	v_fma_f64 v[209:210], v[38:39], v[56:57], v[36:37]
	s_waitcnt lgkmcnt(2)
	v_mul_f64 v[36:37], v[30:31], v[54:55]
	v_fma_f64 v[36:37], v[28:29], v[52:53], -v[36:37]
	v_mul_f64 v[28:29], v[28:29], v[54:55]
	buffer_store_dword v36, off, s[36:39], 0 offset:2796 ; 4-byte Folded Spill
	buffer_store_dword v37, off, s[36:39], 0 offset:2800 ; 4-byte Folded Spill
	v_fma_f64 v[28:29], v[30:31], v[52:53], v[28:29]
	buffer_store_dword v28, off, s[36:39], 0 offset:2804 ; 4-byte Folded Spill
	buffer_store_dword v29, off, s[36:39], 0 offset:2808 ; 4-byte Folded Spill
	global_load_dwordx4 v[36:39], v[50:51], off offset:288
	s_waitcnt vmcnt(0)
	buffer_store_dword v36, off, s[36:39], 0 offset:2380 ; 4-byte Folded Spill
	buffer_store_dword v37, off, s[36:39], 0 offset:2384 ; 4-byte Folded Spill
	;; [unrolled: 1-line block ×4, first 2 shown]
	global_load_dwordx4 v[28:31], v[0:1], off offset:16
	s_waitcnt vmcnt(0)
	buffer_store_dword v28, off, s[36:39], 0 offset:2396 ; 4-byte Folded Spill
	buffer_store_dword v29, off, s[36:39], 0 offset:2400 ; 4-byte Folded Spill
	;; [unrolled: 1-line block ×4, first 2 shown]
	s_waitcnt lgkmcnt(1)
	v_mul_f64 v[0:1], v[26:27], v[38:39]
	v_fma_f64 v[0:1], v[24:25], v[36:37], -v[0:1]
	buffer_store_dword v0, off, s[36:39], 0 offset:2828 ; 4-byte Folded Spill
	buffer_store_dword v1, off, s[36:39], 0 offset:2832 ; 4-byte Folded Spill
	v_mul_f64 v[0:1], v[24:25], v[38:39]
	v_add_f64 v[24:25], v[14:15], v[6:7]
	v_add_f64 v[6:7], v[14:15], -v[6:7]
	v_add_f64 v[14:15], v[214:215], v[12:13]
	v_add_f64 v[12:13], v[12:13], -v[214:215]
	v_fma_f64 v[0:1], v[26:27], v[36:37], v[0:1]
	buffer_store_dword v0, off, s[36:39], 0 offset:2836 ; 4-byte Folded Spill
	buffer_store_dword v1, off, s[36:39], 0 offset:2840 ; 4-byte Folded Spill
	s_waitcnt lgkmcnt(0)
	v_mul_f64 v[0:1], v[22:23], v[30:31]
	v_fma_f64 v[0:1], v[20:21], v[28:29], -v[0:1]
	buffer_store_dword v0, off, s[36:39], 0 offset:2844 ; 4-byte Folded Spill
	buffer_store_dword v1, off, s[36:39], 0 offset:2848 ; 4-byte Folded Spill
	v_mul_f64 v[0:1], v[20:21], v[30:31]
	v_add_f64 v[20:21], v[32:33], v[2:3]
	v_add_f64 v[2:3], v[32:33], -v[2:3]
	v_fma_f64 v[0:1], v[22:23], v[28:29], v[0:1]
	buffer_store_dword v0, off, s[36:39], 0 offset:2852 ; 4-byte Folded Spill
	buffer_store_dword v1, off, s[36:39], 0 offset:2856 ; 4-byte Folded Spill
	v_add_f64 v[0:1], v[212:213], v[4:5]
	v_add_f64 v[22:23], v[16:17], v[8:9]
	v_add_f64 v[8:9], v[16:17], -v[8:9]
	v_add_f64 v[16:17], v[18:19], v[10:11]
	v_add_f64 v[10:11], v[10:11], -v[18:19]
	;; [unrolled: 2-line block ×3, first 2 shown]
	v_add_f64 v[30:31], v[24:25], -v[20:21]
	v_add_f64 v[18:19], v[22:23], v[0:1]
	v_add_f64 v[28:29], v[22:23], -v[0:1]
	v_add_f64 v[0:1], v[0:1], -v[14:15]
	;; [unrolled: 1-line block ×5, first 2 shown]
	v_add_f64 v[32:33], v[12:13], v[8:9]
	v_add_f64 v[36:37], v[10:11], v[6:7]
	v_add_f64 v[38:39], v[12:13], -v[8:9]
	v_add_f64 v[40:41], v[10:11], -v[6:7]
	v_add_f64 v[6:7], v[6:7], -v[2:3]
	v_add_f64 v[16:17], v[16:17], v[26:27]
	v_add_f64 v[12:13], v[4:5], -v[12:13]
	v_add_f64 v[10:11], v[2:3], -v[10:11]
	;; [unrolled: 1-line block ×3, first 2 shown]
	v_add_f64 v[14:15], v[14:15], v[18:19]
	v_mul_f64 v[0:1], v[0:1], s[26:27]
	v_mul_f64 v[18:19], v[20:21], s[26:27]
	;; [unrolled: 1-line block ×4, first 2 shown]
	v_add_f64 v[4:5], v[32:33], v[4:5]
	v_add_f64 v[2:3], v[36:37], v[2:3]
	v_mul_f64 v[32:33], v[38:39], s[22:23]
	v_mul_f64 v[36:37], v[40:41], s[22:23]
	;; [unrolled: 1-line block ×3, first 2 shown]
	v_add_f64 v[202:203], v[202:203], v[16:17]
	v_mul_f64 v[38:39], v[8:9], s[4:5]
	v_add_f64 v[200:201], v[200:201], v[14:15]
	v_fma_f64 v[22:23], v[22:23], s[6:7], v[0:1]
	v_fma_f64 v[24:25], v[24:25], s[6:7], v[18:19]
	v_fma_f64 v[20:21], v[28:29], s[14:15], -v[20:21]
	v_fma_f64 v[26:27], v[30:31], s[14:15], -v[26:27]
	;; [unrolled: 1-line block ×5, first 2 shown]
	v_fma_f64 v[30:31], v[10:11], s[8:9], v[36:37]
	v_fma_f64 v[6:7], v[6:7], s[24:25], -v[36:37]
	v_fma_f64 v[16:17], v[16:17], s[20:21], v[202:203]
	v_fma_f64 v[10:11], v[10:11], s[18:19], v[40:41]
	;; [unrolled: 1-line block ×7, first 2 shown]
	v_add_f64 v[26:27], v[26:27], v[16:17]
	v_add_f64 v[24:25], v[24:25], v[16:17]
	;; [unrolled: 1-line block ×6, first 2 shown]
	v_fma_f64 v[18:19], v[2:3], s[2:3], v[30:31]
	v_fma_f64 v[2:3], v[2:3], s[2:3], v[10:11]
	;; [unrolled: 1-line block ×4, first 2 shown]
	v_add_f64 v[10:11], v[164:165], v[66:67]
	v_add_f64 v[12:13], v[250:251], -v[156:157]
	v_add_f64 v[50:51], v[8:9], v[26:27]
	v_add_f64 v[46:47], v[26:27], -v[8:9]
	;; [unrolled: 2-line block ×4, first 2 shown]
	v_add_f64 v[56:57], v[18:19], v[22:23]
	v_add_f64 v[60:61], v[2:3], v[0:1]
	v_add_f64 v[40:41], v[0:1], -v[2:3]
	v_add_f64 v[0:1], v[172:173], v[64:65]
	v_add_f64 v[2:3], v[168:169], v[34:35]
	v_add_f64 v[58:59], v[24:25], -v[16:17]
	v_add_f64 v[62:63], v[14:15], -v[4:5]
	v_add_f64 v[42:43], v[4:5], v[14:15]
	v_add_f64 v[36:37], v[22:23], -v[18:19]
	v_add_f64 v[38:39], v[16:17], v[24:25]
	v_add_f64 v[4:5], v[172:173], -v[64:65]
	v_add_f64 v[14:15], v[164:165], -v[66:67]
	v_add_f64 v[16:17], v[166:167], v[160:161]
	v_add_f64 v[18:19], v[162:163], v[158:159]
	v_add_f64 v[20:21], v[160:161], -v[166:167]
	v_add_f64 v[22:23], v[158:159], -v[162:163]
	v_add_f64 v[24:25], v[8:9], v[0:1]
	v_add_f64 v[26:27], v[10:11], v[2:3]
	v_add_f64 v[28:29], v[8:9], -v[0:1]
	v_add_f64 v[30:31], v[10:11], -v[2:3]
	;; [unrolled: 1-line block ×6, first 2 shown]
	v_add_f64 v[32:33], v[20:21], v[12:13]
	v_add_f64 v[34:35], v[22:23], v[14:15]
	v_add_f64 v[52:53], v[20:21], -v[12:13]
	v_add_f64 v[54:55], v[22:23], -v[14:15]
	;; [unrolled: 1-line block ×6, first 2 shown]
	v_add_f64 v[16:17], v[16:17], v[24:25]
	v_add_f64 v[18:19], v[18:19], v[26:27]
	v_mul_f64 v[0:1], v[0:1], s[26:27]
	v_mul_f64 v[2:3], v[2:3], s[26:27]
	v_add_f64 v[24:25], v[32:33], v[4:5]
	v_add_f64 v[26:27], v[34:35], v[6:7]
	v_mul_f64 v[32:33], v[8:9], s[6:7]
	v_mul_f64 v[34:35], v[10:11], s[6:7]
	;; [unrolled: 1-line block ×6, first 2 shown]
	v_add_f64 v[4:5], v[252:253], v[16:17]
	v_add_f64 v[6:7], v[254:255], v[18:19]
	v_fma_f64 v[8:9], v[8:9], s[6:7], v[0:1]
	v_fma_f64 v[10:11], v[10:11], s[6:7], v[2:3]
	v_fma_f64 v[0:1], v[28:29], s[16:17], -v[0:1]
	v_fma_f64 v[2:3], v[30:31], s[16:17], -v[2:3]
	;; [unrolled: 1-line block ×4, first 2 shown]
	v_fma_f64 v[28:29], v[20:21], s[8:9], v[52:53]
	v_fma_f64 v[30:31], v[22:23], s[8:9], v[54:55]
	v_fma_f64 v[12:13], v[12:13], s[24:25], -v[52:53]
	v_fma_f64 v[14:15], v[14:15], s[24:25], -v[54:55]
	v_fma_f64 v[20:21], v[20:21], s[18:19], v[64:65]
	v_fma_f64 v[16:17], v[16:17], s[20:21], v[4:5]
	;; [unrolled: 1-line block ×7, first 2 shown]
	v_add_f64 v[32:33], v[32:33], v[16:17]
	v_add_f64 v[34:35], v[34:35], v[18:19]
	;; [unrolled: 1-line block ×4, first 2 shown]
	v_fma_f64 v[66:67], v[26:27], s[2:3], v[22:23]
	v_add_f64 v[8:9], v[8:9], v[16:17]
	v_add_f64 v[10:11], v[10:11], v[18:19]
	v_fma_f64 v[16:17], v[24:25], s[2:3], v[28:29]
	v_fma_f64 v[18:19], v[26:27], s[2:3], v[30:31]
	v_add_f64 v[24:25], v[32:33], -v[14:15]
	v_add_f64 v[26:27], v[12:13], v[34:35]
	v_add_f64 v[20:21], v[14:15], v[32:33]
	v_add_f64 v[54:55], v[2:3], -v[64:65]
	v_add_f64 v[52:53], v[66:67], v[0:1]
	v_add_f64 v[22:23], v[34:35], -v[12:13]
	v_add_f64 v[68:69], v[0:1], -v[66:67]
	v_add_f64 v[70:71], v[64:65], v[2:3]
	v_add_f64 v[0:1], v[148:149], v[128:129]
	;; [unrolled: 1-line block ×6, first 2 shown]
	v_add_f64 v[30:31], v[10:11], -v[16:17]
	v_add_f64 v[72:73], v[8:9], -v[18:19]
	v_add_f64 v[74:75], v[16:17], v[10:11]
	v_add_f64 v[8:9], v[148:149], -v[128:129]
	v_add_f64 v[10:11], v[144:145], -v[124:125]
	;; [unrolled: 1-line block ×4, first 2 shown]
	v_add_f64 v[32:33], v[142:143], v[136:137]
	v_add_f64 v[34:35], v[138:139], v[132:133]
	v_add_f64 v[64:65], v[136:137], -v[142:143]
	v_add_f64 v[66:67], v[132:133], -v[138:139]
	v_add_f64 v[124:125], v[186:187], v[174:175]
	v_add_f64 v[128:129], v[174:175], -v[186:187]
	v_add_f64 v[130:131], v[170:171], -v[184:185]
	v_add_f64 v[76:77], v[12:13], v[0:1]
	v_add_f64 v[78:79], v[14:15], v[2:3]
	v_add_f64 v[80:81], v[12:13], -v[0:1]
	v_add_f64 v[82:83], v[14:15], -v[2:3]
	;; [unrolled: 1-line block ×6, first 2 shown]
	v_add_f64 v[0:1], v[64:65], v[16:17]
	v_add_f64 v[2:3], v[66:67], v[18:19]
	v_add_f64 v[88:89], v[64:65], -v[16:17]
	v_add_f64 v[90:91], v[66:67], -v[18:19]
	;; [unrolled: 1-line block ×6, first 2 shown]
	v_add_f64 v[32:33], v[32:33], v[76:77]
	v_add_f64 v[34:35], v[34:35], v[78:79]
	v_mul_f64 v[76:77], v[84:85], s[26:27]
	v_mul_f64 v[78:79], v[86:87], s[26:27]
	;; [unrolled: 1-line block ×4, first 2 shown]
	v_add_f64 v[8:9], v[0:1], v[8:9]
	v_add_f64 v[10:11], v[2:3], v[10:11]
	v_mul_f64 v[88:89], v[88:89], s[22:23]
	v_mul_f64 v[90:91], v[90:91], s[22:23]
	;; [unrolled: 1-line block ×4, first 2 shown]
	v_add_f64 v[0:1], v[246:247], v[32:33]
	v_add_f64 v[2:3], v[248:249], v[34:35]
	v_fma_f64 v[12:13], v[12:13], s[6:7], v[76:77]
	v_fma_f64 v[14:15], v[14:15], s[6:7], v[78:79]
	v_fma_f64 v[84:85], v[80:81], s[14:15], -v[84:85]
	v_fma_f64 v[86:87], v[82:83], s[14:15], -v[86:87]
	;; [unrolled: 1-line block ×4, first 2 shown]
	v_fma_f64 v[80:81], v[64:65], s[8:9], v[88:89]
	v_fma_f64 v[82:83], v[66:67], s[8:9], v[90:91]
	v_fma_f64 v[16:17], v[16:17], s[24:25], -v[88:89]
	v_fma_f64 v[18:19], v[18:19], s[24:25], -v[90:91]
	v_fma_f64 v[64:65], v[64:65], s[18:19], v[92:93]
	v_fma_f64 v[66:67], v[66:67], s[18:19], v[94:95]
	;; [unrolled: 1-line block ×10, first 2 shown]
	v_add_f64 v[12:13], v[12:13], v[32:33]
	v_add_f64 v[14:15], v[14:15], v[34:35]
	;; [unrolled: 1-line block ×9, first 2 shown]
	v_add_f64 v[82:83], v[14:15], -v[98:99]
	v_add_f64 v[84:85], v[88:89], -v[18:19]
	v_add_f64 v[86:87], v[16:17], v[90:91]
	v_add_f64 v[76:77], v[10:11], v[32:33]
	v_add_f64 v[78:79], v[34:35], -v[8:9]
	v_add_f64 v[88:89], v[18:19], v[88:89]
	v_add_f64 v[90:91], v[90:91], -v[16:17]
	v_add_f64 v[92:93], v[32:33], -v[10:11]
	v_add_f64 v[94:95], v[8:9], v[34:35]
	v_add_f64 v[8:9], v[126:127], v[106:107]
	;; [unrolled: 1-line block ×5, first 2 shown]
	v_add_f64 v[96:97], v[12:13], -v[96:97]
	v_add_f64 v[98:99], v[98:99], v[14:15]
	v_add_f64 v[12:13], v[126:127], -v[106:107]
	v_add_f64 v[14:15], v[120:121], -v[100:101]
	;; [unrolled: 1-line block ×5, first 2 shown]
	v_add_f64 v[126:127], v[184:185], v[170:171]
	v_add_f64 v[104:105], v[16:17], v[8:9]
	;; [unrolled: 1-line block ×3, first 2 shown]
	v_add_f64 v[108:109], v[16:17], -v[8:9]
	v_add_f64 v[110:111], v[18:19], -v[10:11]
	;; [unrolled: 1-line block ×6, first 2 shown]
	v_add_f64 v[112:113], v[100:101], v[32:33]
	v_add_f64 v[114:115], v[102:103], v[34:35]
	v_add_f64 v[116:117], v[100:101], -v[32:33]
	v_add_f64 v[118:119], v[102:103], -v[34:35]
	v_add_f64 v[32:33], v[32:33], -v[12:13]
	v_add_f64 v[34:35], v[34:35], -v[14:15]
	v_add_f64 v[100:101], v[12:13], -v[100:101]
	v_add_f64 v[102:103], v[14:15], -v[102:103]
	v_add_f64 v[64:65], v[64:65], v[104:105]
	v_add_f64 v[66:67], v[66:67], v[106:107]
	v_mul_f64 v[8:9], v[8:9], s[26:27]
	v_mul_f64 v[10:11], v[10:11], s[26:27]
	v_add_f64 v[104:105], v[112:113], v[12:13]
	v_add_f64 v[106:107], v[114:115], v[14:15]
	v_mul_f64 v[112:113], v[16:17], s[6:7]
	v_mul_f64 v[114:115], v[18:19], s[6:7]
	;; [unrolled: 1-line block ×6, first 2 shown]
	v_add_f64 v[12:13], v[205:206], v[64:65]
	v_add_f64 v[14:15], v[207:208], v[66:67]
	v_fma_f64 v[16:17], v[16:17], s[6:7], v[8:9]
	v_fma_f64 v[18:19], v[18:19], s[6:7], v[10:11]
	v_fma_f64 v[8:9], v[108:109], s[16:17], -v[8:9]
	v_fma_f64 v[10:11], v[110:111], s[16:17], -v[10:11]
	;; [unrolled: 1-line block ×4, first 2 shown]
	v_fma_f64 v[108:109], v[100:101], s[8:9], v[116:117]
	v_fma_f64 v[110:111], v[102:103], s[8:9], v[118:119]
	v_fma_f64 v[32:33], v[32:33], s[24:25], -v[116:117]
	v_fma_f64 v[34:35], v[34:35], s[24:25], -v[118:119]
	v_fma_f64 v[100:101], v[100:101], s[18:19], v[120:121]
	v_fma_f64 v[102:103], v[102:103], s[18:19], v[122:123]
	;; [unrolled: 1-line block ×8, first 2 shown]
	v_add_f64 v[112:113], v[112:113], v[64:65]
	v_add_f64 v[114:115], v[114:115], v[66:67]
	;; [unrolled: 1-line block ×6, first 2 shown]
	v_fma_f64 v[64:65], v[104:105], s[2:3], v[108:109]
	v_fma_f64 v[66:67], v[106:107], s[2:3], v[110:111]
	v_add_f64 v[108:109], v[112:113], -v[34:35]
	v_add_f64 v[110:111], v[32:33], v[114:115]
	v_add_f64 v[100:101], v[116:117], v[8:9]
	v_add_f64 v[102:103], v[10:11], -v[118:119]
	v_add_f64 v[112:113], v[34:35], v[112:113]
	v_add_f64 v[114:115], v[114:115], -v[32:33]
	v_add_f64 v[116:117], v[8:9], -v[116:117]
	v_add_f64 v[118:119], v[118:119], v[10:11]
	v_add_f64 v[8:9], v[178:179], v[150:151]
	;; [unrolled: 1-line block ×6, first 2 shown]
	v_add_f64 v[106:107], v[18:19], -v[64:65]
	v_add_f64 v[120:121], v[16:17], -v[66:67]
	v_add_f64 v[122:123], v[64:65], v[18:19]
	v_add_f64 v[16:17], v[178:179], -v[150:151]
	v_add_f64 v[18:19], v[176:177], -v[134:135]
	;; [unrolled: 1-line block ×4, first 2 shown]
	v_add_f64 v[132:133], v[32:33], v[8:9]
	v_add_f64 v[134:135], v[34:35], v[10:11]
	v_add_f64 v[136:137], v[32:33], -v[8:9]
	v_add_f64 v[138:139], v[34:35], -v[10:11]
	;; [unrolled: 1-line block ×6, first 2 shown]
	v_add_f64 v[140:141], v[128:129], v[64:65]
	v_add_f64 v[142:143], v[130:131], v[66:67]
	v_add_f64 v[144:145], v[128:129], -v[64:65]
	v_add_f64 v[146:147], v[130:131], -v[66:67]
	;; [unrolled: 1-line block ×6, first 2 shown]
	v_add_f64 v[124:125], v[124:125], v[132:133]
	v_add_f64 v[126:127], v[126:127], v[134:135]
	v_mul_f64 v[8:9], v[8:9], s[26:27]
	v_mul_f64 v[10:11], v[10:11], s[26:27]
	v_add_f64 v[132:133], v[140:141], v[16:17]
	v_add_f64 v[134:135], v[142:143], v[18:19]
	v_mul_f64 v[140:141], v[32:33], s[6:7]
	v_mul_f64 v[142:143], v[34:35], s[6:7]
	v_mul_f64 v[144:145], v[144:145], s[22:23]
	v_mul_f64 v[146:147], v[146:147], s[22:23]
	v_mul_f64 v[148:149], v[64:65], s[4:5]
	v_mul_f64 v[150:151], v[66:67], s[4:5]
	v_add_f64 v[16:17], v[216:217], v[124:125]
	v_add_f64 v[18:19], v[218:219], v[126:127]
	v_fma_f64 v[32:33], v[32:33], s[6:7], v[8:9]
	v_fma_f64 v[34:35], v[34:35], s[6:7], v[10:11]
	v_fma_f64 v[8:9], v[136:137], s[16:17], -v[8:9]
	v_fma_f64 v[10:11], v[138:139], s[16:17], -v[10:11]
	;; [unrolled: 1-line block ×4, first 2 shown]
	v_fma_f64 v[136:137], v[128:129], s[8:9], v[144:145]
	v_fma_f64 v[138:139], v[130:131], s[8:9], v[146:147]
	v_fma_f64 v[64:65], v[64:65], s[24:25], -v[144:145]
	v_fma_f64 v[66:67], v[66:67], s[24:25], -v[146:147]
	v_fma_f64 v[128:129], v[128:129], s[18:19], v[148:149]
	v_fma_f64 v[130:131], v[130:131], s[18:19], v[150:151]
	;; [unrolled: 1-line block ×10, first 2 shown]
	v_add_f64 v[32:33], v[32:33], v[124:125]
	v_add_f64 v[34:35], v[34:35], v[126:127]
	;; [unrolled: 1-line block ×7, first 2 shown]
	v_add_f64 v[130:131], v[34:35], -v[146:147]
	v_add_f64 v[132:133], v[140:141], -v[66:67]
	v_add_f64 v[134:135], v[64:65], v[142:143]
	v_add_f64 v[124:125], v[150:151], v[8:9]
	v_add_f64 v[126:127], v[10:11], -v[148:149]
	v_add_f64 v[136:137], v[66:67], v[140:141]
	v_add_f64 v[138:139], v[142:143], -v[64:65]
	v_add_f64 v[140:141], v[8:9], -v[150:151]
	v_add_f64 v[142:143], v[148:149], v[10:11]
	v_add_f64 v[144:145], v[32:33], -v[144:145]
	v_add_f64 v[146:147], v[146:147], v[34:35]
	s_clause 0xb
	buffer_load_dword v32, off, s[36:39], 0 offset:2876
	buffer_load_dword v33, off, s[36:39], 0 offset:2880
	;; [unrolled: 1-line block ×12, first 2 shown]
	s_waitcnt vmcnt(10)
	v_add_f64 v[8:9], v[32:33], v[190:191]
	s_waitcnt vmcnt(8)
	v_add_f64 v[10:11], v[34:35], v[188:189]
	;; [unrolled: 2-line block ×4, first 2 shown]
	v_add_f64 v[32:33], v[32:33], -v[190:191]
	v_add_f64 v[34:35], v[34:35], -v[188:189]
	;; [unrolled: 1-line block ×4, first 2 shown]
	s_waitcnt vmcnt(2)
	v_add_f64 v[152:153], v[156:157], v[244:245]
	s_waitcnt vmcnt(0)
	v_add_f64 v[154:155], v[158:159], v[236:237]
	v_add_f64 v[156:157], v[244:245], -v[156:157]
	v_add_f64 v[158:159], v[236:237], -v[158:159]
	v_add_f64 v[160:161], v[64:65], v[8:9]
	v_add_f64 v[162:163], v[66:67], v[10:11]
	v_add_f64 v[164:165], v[64:65], -v[8:9]
	v_add_f64 v[166:167], v[66:67], -v[10:11]
	;; [unrolled: 1-line block ×6, first 2 shown]
	v_add_f64 v[168:169], v[156:157], v[148:149]
	v_add_f64 v[170:171], v[158:159], v[150:151]
	v_add_f64 v[172:173], v[156:157], -v[148:149]
	v_add_f64 v[174:175], v[158:159], -v[150:151]
	;; [unrolled: 1-line block ×6, first 2 shown]
	v_add_f64 v[152:153], v[152:153], v[160:161]
	v_add_f64 v[154:155], v[154:155], v[162:163]
	v_mul_f64 v[8:9], v[8:9], s[26:27]
	v_mul_f64 v[10:11], v[10:11], s[26:27]
	v_add_f64 v[160:161], v[168:169], v[32:33]
	v_add_f64 v[162:163], v[170:171], v[34:35]
	v_mul_f64 v[168:169], v[64:65], s[6:7]
	v_mul_f64 v[170:171], v[66:67], s[6:7]
	;; [unrolled: 1-line block ×6, first 2 shown]
	v_add_f64 v[32:33], v[220:221], v[152:153]
	v_add_f64 v[34:35], v[222:223], v[154:155]
	v_fma_f64 v[64:65], v[64:65], s[6:7], v[8:9]
	v_fma_f64 v[66:67], v[66:67], s[6:7], v[10:11]
	v_fma_f64 v[8:9], v[164:165], s[16:17], -v[8:9]
	v_fma_f64 v[10:11], v[166:167], s[16:17], -v[10:11]
	;; [unrolled: 1-line block ×4, first 2 shown]
	v_fma_f64 v[164:165], v[156:157], s[8:9], v[172:173]
	v_fma_f64 v[166:167], v[158:159], s[8:9], v[174:175]
	v_fma_f64 v[148:149], v[148:149], s[24:25], -v[172:173]
	v_fma_f64 v[150:151], v[150:151], s[24:25], -v[174:175]
	v_fma_f64 v[156:157], v[156:157], s[18:19], v[176:177]
	v_fma_f64 v[158:159], v[158:159], s[18:19], v[178:179]
	;; [unrolled: 1-line block ×10, first 2 shown]
	v_add_f64 v[64:65], v[64:65], v[152:153]
	v_add_f64 v[66:67], v[66:67], v[154:155]
	;; [unrolled: 1-line block ×7, first 2 shown]
	v_add_f64 v[154:155], v[66:67], -v[172:173]
	v_add_f64 v[156:157], v[168:169], -v[166:167]
	v_add_f64 v[158:159], v[164:165], v[170:171]
	v_add_f64 v[148:149], v[178:179], v[8:9]
	v_add_f64 v[150:151], v[10:11], -v[176:177]
	v_add_f64 v[160:161], v[166:167], v[168:169]
	v_add_f64 v[162:163], v[170:171], -v[164:165]
	v_add_f64 v[164:165], v[8:9], -v[178:179]
	v_add_f64 v[166:167], v[176:177], v[10:11]
	v_add_f64 v[168:169], v[64:65], -v[174:175]
	v_add_f64 v[170:171], v[172:173], v[66:67]
	s_clause 0x13
	buffer_load_dword v64, off, s[36:39], 0 offset:2812
	buffer_load_dword v65, off, s[36:39], 0 offset:2816
	;; [unrolled: 1-line block ×20, first 2 shown]
	s_waitcnt vmcnt(16)
	v_add_f64 v[8:9], v[64:65], v[172:173]
	s_waitcnt vmcnt(12)
	v_add_f64 v[10:11], v[66:67], v[174:175]
	v_add_f64 v[64:65], v[64:65], -v[172:173]
	v_add_f64 v[66:67], v[66:67], -v[174:175]
	s_waitcnt vmcnt(8)
	v_add_f64 v[172:173], v[176:177], v[180:181]
	s_waitcnt vmcnt(4)
	v_add_f64 v[174:175], v[178:179], v[182:183]
	v_add_f64 v[176:177], v[176:177], -v[180:181]
	v_add_f64 v[178:179], v[178:179], -v[182:183]
	;; [unrolled: 6-line block ×3, first 2 shown]
	v_add_f64 v[188:189], v[172:173], v[8:9]
	v_add_f64 v[190:191], v[174:175], v[10:11]
	v_add_f64 v[192:193], v[172:173], -v[8:9]
	v_add_f64 v[194:195], v[174:175], -v[10:11]
	;; [unrolled: 1-line block ×6, first 2 shown]
	v_add_f64 v[198:199], v[184:185], v[176:177]
	v_add_f64 v[205:206], v[186:187], v[178:179]
	v_add_f64 v[207:208], v[184:185], -v[176:177]
	v_add_f64 v[209:210], v[186:187], -v[178:179]
	v_add_f64 v[176:177], v[176:177], -v[64:65]
	v_add_f64 v[178:179], v[178:179], -v[66:67]
	v_add_f64 v[184:185], v[64:65], -v[184:185]
	v_add_f64 v[186:187], v[66:67], -v[186:187]
	v_add_f64 v[180:181], v[180:181], v[188:189]
	v_add_f64 v[182:183], v[182:183], v[190:191]
	v_mul_f64 v[8:9], v[8:9], s[26:27]
	v_mul_f64 v[10:11], v[10:11], s[26:27]
	v_add_f64 v[188:189], v[198:199], v[64:65]
	v_add_f64 v[190:191], v[205:206], v[66:67]
	v_mul_f64 v[198:199], v[172:173], s[6:7]
	v_mul_f64 v[205:206], v[174:175], s[6:7]
	;; [unrolled: 1-line block ×6, first 2 shown]
	s_mov_b32 s23, 0x3fe11646
	v_add_f64 v[64:65], v[232:233], v[180:181]
	v_add_f64 v[66:67], v[234:235], v[182:183]
	v_fma_f64 v[172:173], v[172:173], s[6:7], v[8:9]
	v_fma_f64 v[174:175], v[174:175], s[6:7], v[10:11]
	v_fma_f64 v[8:9], v[192:193], s[16:17], -v[8:9]
	v_fma_f64 v[10:11], v[194:195], s[16:17], -v[10:11]
	v_fma_f64 v[198:199], v[192:193], s[14:15], -v[198:199]
	v_fma_f64 v[205:206], v[194:195], s[14:15], -v[205:206]
	v_fma_f64 v[192:193], v[184:185], s[8:9], v[207:208]
	v_fma_f64 v[194:195], v[186:187], s[8:9], v[209:210]
	v_fma_f64 v[176:177], v[176:177], s[24:25], -v[207:208]
	v_fma_f64 v[178:179], v[178:179], s[24:25], -v[209:210]
	v_fma_f64 v[184:185], v[184:185], s[18:19], v[211:212]
	v_fma_f64 v[186:187], v[186:187], s[18:19], v[213:214]
	;; [unrolled: 1-line block ×6, first 2 shown]
	v_add_f64 v[207:208], v[172:173], v[180:181]
	v_add_f64 v[209:210], v[174:175], v[182:183]
	;; [unrolled: 1-line block ×6, first 2 shown]
	v_fma_f64 v[182:183], v[188:189], s[2:3], v[176:177]
	v_fma_f64 v[180:181], v[190:191], s[2:3], v[178:179]
	;; [unrolled: 1-line block ×4, first 2 shown]
	s_mov_b32 s3, 0xbfdc38aa
	v_add_f64 v[8:9], v[194:195], v[207:208]
	v_add_f64 v[10:11], v[209:210], -v[192:193]
	v_add_f64 v[190:191], v[192:193], v[209:210]
	v_add_f64 v[178:179], v[182:183], v[205:206]
	v_add_f64 v[176:177], v[198:199], -v[180:181]
	v_add_f64 v[174:175], v[213:214], -v[188:189]
	v_add_f64 v[172:173], v[184:185], v[211:212]
	v_add_f64 v[180:181], v[180:181], v[198:199]
	v_add_f64 v[182:183], v[205:206], -v[182:183]
	v_add_f64 v[184:185], v[211:212], -v[184:185]
	v_add_f64 v[186:187], v[188:189], v[213:214]
	v_add_f64 v[188:189], v[207:208], -v[194:195]
	ds_write_b128 v196, v[200:203]
	ds_write_b128 v196, v[56:59] offset:5488
	ds_write_b128 v196, v[60:63] offset:10976
	;; [unrolled: 1-line block ×48, first 2 shown]
	s_waitcnt lgkmcnt(0)
	s_waitcnt_vscnt null, 0x0
	s_barrier
	buffer_gl0_inv
	ds_read_b128 v[0:3], v196
	s_clause 0x1
	buffer_load_dword v4, off, s[36:39], 0 offset:2772
	buffer_load_dword v5, off, s[36:39], 0 offset:2776
	v_add_co_u32 v20, vcc_lo, 0x9610, v197
	v_add_co_ci_u32_e32 v21, vcc_lo, 0, v204, vcc_lo
	s_waitcnt vmcnt(0)
	global_load_dwordx4 v[4:7], v[4:5], off offset:1552
	s_waitcnt vmcnt(0) lgkmcnt(0)
	v_mul_f64 v[8:9], v[2:3], v[6:7]
	v_fma_f64 v[8:9], v[0:1], v[4:5], -v[8:9]
	v_mul_f64 v[0:1], v[0:1], v[6:7]
	v_fma_f64 v[10:11], v[2:3], v[4:5], v[0:1]
	v_add_co_u32 v0, vcc_lo, 0xa800, v197
	v_add_co_ci_u32_e32 v1, vcc_lo, 0, v204, vcc_lo
	ds_read_b128 v[2:5], v196 offset:5488
	v_add_co_u32 v22, vcc_lo, 0xc000, v197
	v_add_co_ci_u32_e32 v23, vcc_lo, 0, v204, vcc_lo
	ds_write_b128 v196, v[8:11]
	global_load_dwordx4 v[6:9], v[0:1], off offset:896
	s_waitcnt vmcnt(0) lgkmcnt(1)
	v_mul_f64 v[10:11], v[4:5], v[8:9]
	v_fma_f64 v[10:11], v[2:3], v[6:7], -v[10:11]
	v_mul_f64 v[2:3], v[2:3], v[8:9]
	v_fma_f64 v[12:13], v[4:5], v[6:7], v[2:3]
	global_load_dwordx4 v[6:9], v[22:23], off offset:240
	ds_read_b128 v[2:5], v196 offset:10976
	ds_write_b128 v196, v[10:13] offset:5488
	s_waitcnt vmcnt(0) lgkmcnt(1)
	v_mul_f64 v[10:11], v[4:5], v[8:9]
	v_fma_f64 v[10:11], v[2:3], v[6:7], -v[10:11]
	v_mul_f64 v[2:3], v[2:3], v[8:9]
	v_fma_f64 v[12:13], v[4:5], v[6:7], v[2:3]
	v_add_co_u32 v2, vcc_lo, 0xd000, v197
	v_add_co_ci_u32_e32 v3, vcc_lo, 0, v204, vcc_lo
	ds_read_b128 v[4:7], v196 offset:16464
	ds_write_b128 v196, v[10:13] offset:10976
	global_load_dwordx4 v[8:11], v[2:3], off offset:1632
	s_waitcnt vmcnt(0) lgkmcnt(1)
	v_mul_f64 v[12:13], v[6:7], v[10:11]
	v_fma_f64 v[12:13], v[4:5], v[8:9], -v[12:13]
	v_mul_f64 v[4:5], v[4:5], v[10:11]
	v_fma_f64 v[14:15], v[6:7], v[8:9], v[4:5]
	v_add_co_u32 v4, vcc_lo, 0xe800, v197
	v_add_co_ci_u32_e32 v5, vcc_lo, 0, v204, vcc_lo
	ds_read_b128 v[6:9], v196 offset:21952
	v_add_co_u32 v24, vcc_lo, 0x10000, v197
	v_add_co_ci_u32_e32 v25, vcc_lo, 0, v204, vcc_lo
	ds_write_b128 v196, v[12:15] offset:16464
	global_load_dwordx4 v[10:13], v[4:5], off offset:976
	s_waitcnt vmcnt(0) lgkmcnt(1)
	v_mul_f64 v[14:15], v[8:9], v[12:13]
	v_fma_f64 v[14:15], v[6:7], v[10:11], -v[14:15]
	v_mul_f64 v[6:7], v[6:7], v[12:13]
	v_fma_f64 v[16:17], v[8:9], v[10:11], v[6:7]
	global_load_dwordx4 v[10:13], v[24:25], off offset:320
	ds_read_b128 v[6:9], v196 offset:27440
	ds_write_b128 v196, v[14:17] offset:21952
	s_waitcnt vmcnt(0) lgkmcnt(1)
	v_mul_f64 v[14:15], v[8:9], v[12:13]
	v_fma_f64 v[14:15], v[6:7], v[10:11], -v[14:15]
	v_mul_f64 v[6:7], v[6:7], v[12:13]
	v_fma_f64 v[16:17], v[8:9], v[10:11], v[6:7]
	v_add_co_u32 v6, vcc_lo, 0x11000, v197
	v_add_co_ci_u32_e32 v7, vcc_lo, 0, v204, vcc_lo
	ds_read_b128 v[8:11], v196 offset:32928
	v_add_co_u32 v26, vcc_lo, 0xd800, v197
	v_add_co_ci_u32_e32 v27, vcc_lo, 0, v204, vcc_lo
	v_add_co_u32 v28, vcc_lo, 0x11800, v197
	v_add_co_ci_u32_e32 v29, vcc_lo, 0, v204, vcc_lo
	ds_write_b128 v196, v[14:17] offset:27440
	global_load_dwordx4 v[12:15], v[6:7], off offset:1712
	s_waitcnt vmcnt(0) lgkmcnt(1)
	v_mul_f64 v[16:17], v[10:11], v[14:15]
	v_fma_f64 v[16:17], v[8:9], v[12:13], -v[16:17]
	v_mul_f64 v[8:9], v[8:9], v[14:15]
	v_fma_f64 v[18:19], v[10:11], v[12:13], v[8:9]
	global_load_dwordx4 v[12:15], v[20:21], off offset:784
	ds_read_b128 v[8:11], v196 offset:784
	ds_write_b128 v196, v[16:19] offset:32928
	s_waitcnt vmcnt(0) lgkmcnt(1)
	v_mul_f64 v[16:17], v[10:11], v[14:15]
	v_fma_f64 v[16:17], v[8:9], v[12:13], -v[16:17]
	v_mul_f64 v[8:9], v[8:9], v[14:15]
	v_fma_f64 v[18:19], v[10:11], v[12:13], v[8:9]
	global_load_dwordx4 v[12:15], v[0:1], off offset:1680
	ds_read_b128 v[8:11], v196 offset:6272
	ds_write_b128 v196, v[16:19] offset:784
	;; [unrolled: 8-line block ×7, first 2 shown]
	s_waitcnt vmcnt(0) lgkmcnt(1)
	v_mul_f64 v[16:17], v[10:11], v[14:15]
	v_fma_f64 v[16:17], v[8:9], v[12:13], -v[16:17]
	v_mul_f64 v[8:9], v[8:9], v[14:15]
	v_fma_f64 v[18:19], v[10:11], v[12:13], v[8:9]
	global_load_dwordx4 v[12:15], v[20:21], off offset:1568
	ds_read_b128 v[8:11], v196 offset:1568
	v_add_co_u32 v20, vcc_lo, 0xb000, v197
	v_add_co_ci_u32_e32 v21, vcc_lo, 0, v204, vcc_lo
	ds_write_b128 v196, v[16:19] offset:33712
	s_waitcnt vmcnt(0) lgkmcnt(1)
	v_mul_f64 v[16:17], v[10:11], v[14:15]
	v_fma_f64 v[16:17], v[8:9], v[12:13], -v[16:17]
	v_mul_f64 v[8:9], v[8:9], v[14:15]
	v_fma_f64 v[18:19], v[10:11], v[12:13], v[8:9]
	global_load_dwordx4 v[12:15], v[20:21], off offset:416
	ds_read_b128 v[8:11], v196 offset:7056
	ds_write_b128 v196, v[16:19] offset:1568
	s_waitcnt vmcnt(0) lgkmcnt(1)
	v_mul_f64 v[16:17], v[10:11], v[14:15]
	v_fma_f64 v[16:17], v[8:9], v[12:13], -v[16:17]
	v_mul_f64 v[8:9], v[8:9], v[14:15]
	v_fma_f64 v[18:19], v[10:11], v[12:13], v[8:9]
	global_load_dwordx4 v[12:15], v[22:23], off offset:1808
	ds_read_b128 v[8:11], v196 offset:12544
	v_add_co_u32 v22, vcc_lo, 0xf000, v197
	v_add_co_ci_u32_e32 v23, vcc_lo, 0, v204, vcc_lo
	ds_write_b128 v196, v[16:19] offset:7056
	s_waitcnt vmcnt(0) lgkmcnt(1)
	v_mul_f64 v[16:17], v[10:11], v[14:15]
	v_fma_f64 v[16:17], v[8:9], v[12:13], -v[16:17]
	v_mul_f64 v[8:9], v[8:9], v[14:15]
	v_fma_f64 v[18:19], v[10:11], v[12:13], v[8:9]
	global_load_dwordx4 v[12:15], v[26:27], off offset:1152
	ds_read_b128 v[8:11], v196 offset:18032
	ds_write_b128 v196, v[16:19] offset:12544
	s_waitcnt vmcnt(0) lgkmcnt(1)
	v_mul_f64 v[16:17], v[10:11], v[14:15]
	v_fma_f64 v[16:17], v[8:9], v[12:13], -v[16:17]
	v_mul_f64 v[8:9], v[8:9], v[14:15]
	v_fma_f64 v[18:19], v[10:11], v[12:13], v[8:9]
	global_load_dwordx4 v[12:15], v[22:23], off offset:496
	ds_read_b128 v[8:11], v196 offset:23520
	;; [unrolled: 8-line block ×4, first 2 shown]
	ds_write_b128 v196, v[16:19] offset:29008
	s_waitcnt vmcnt(0) lgkmcnt(1)
	v_mul_f64 v[16:17], v[10:11], v[14:15]
	v_fma_f64 v[16:17], v[8:9], v[12:13], -v[16:17]
	v_mul_f64 v[8:9], v[8:9], v[14:15]
	v_fma_f64 v[18:19], v[10:11], v[12:13], v[8:9]
	v_add_co_u32 v12, vcc_lo, 0x9800, v197
	v_add_co_ci_u32_e32 v13, vcc_lo, 0, v204, vcc_lo
	ds_read_b128 v[8:11], v196 offset:2352
	v_add_co_u32 v24, vcc_lo, 0xc800, v197
	global_load_dwordx4 v[12:15], v[12:13], off offset:1856
	v_add_co_ci_u32_e32 v25, vcc_lo, 0, v204, vcc_lo
	ds_write_b128 v196, v[16:19] offset:34496
	s_waitcnt vmcnt(0) lgkmcnt(1)
	v_mul_f64 v[16:17], v[10:11], v[14:15]
	v_fma_f64 v[16:17], v[8:9], v[12:13], -v[16:17]
	v_mul_f64 v[8:9], v[8:9], v[14:15]
	v_fma_f64 v[18:19], v[10:11], v[12:13], v[8:9]
	global_load_dwordx4 v[12:15], v[20:21], off offset:1200
	ds_read_b128 v[8:11], v196 offset:7840
	ds_write_b128 v196, v[16:19] offset:2352
	s_waitcnt vmcnt(0) lgkmcnt(1)
	v_mul_f64 v[16:17], v[10:11], v[14:15]
	v_fma_f64 v[16:17], v[8:9], v[12:13], -v[16:17]
	v_mul_f64 v[8:9], v[8:9], v[14:15]
	v_fma_f64 v[18:19], v[10:11], v[12:13], v[8:9]
	global_load_dwordx4 v[12:15], v[24:25], off offset:544
	ds_read_b128 v[8:11], v196 offset:13328
	ds_write_b128 v196, v[16:19] offset:7840
	s_waitcnt vmcnt(0) lgkmcnt(1)
	v_mul_f64 v[16:17], v[10:11], v[14:15]
	v_fma_f64 v[16:17], v[8:9], v[12:13], -v[16:17]
	v_mul_f64 v[8:9], v[8:9], v[14:15]
	v_fma_f64 v[18:19], v[10:11], v[12:13], v[8:9]
	global_load_dwordx4 v[12:15], v[26:27], off offset:1936
	ds_read_b128 v[8:11], v196 offset:18816
	ds_write_b128 v196, v[16:19] offset:13328
	s_waitcnt vmcnt(0) lgkmcnt(1)
	v_mul_f64 v[16:17], v[10:11], v[14:15]
	v_fma_f64 v[16:17], v[8:9], v[12:13], -v[16:17]
	v_mul_f64 v[8:9], v[8:9], v[14:15]
	v_fma_f64 v[18:19], v[10:11], v[12:13], v[8:9]
	global_load_dwordx4 v[12:15], v[22:23], off offset:1280
	ds_read_b128 v[8:11], v196 offset:24304
	v_add_co_u32 v22, vcc_lo, 0x10800, v197
	v_add_co_ci_u32_e32 v23, vcc_lo, 0, v204, vcc_lo
	v_add_co_u32 v26, vcc_lo, 0xa000, v197
	v_add_co_ci_u32_e32 v27, vcc_lo, 0, v204, vcc_lo
	ds_write_b128 v196, v[16:19] offset:18816
	s_waitcnt vmcnt(0) lgkmcnt(1)
	v_mul_f64 v[16:17], v[10:11], v[14:15]
	v_fma_f64 v[16:17], v[8:9], v[12:13], -v[16:17]
	v_mul_f64 v[8:9], v[8:9], v[14:15]
	v_fma_f64 v[18:19], v[10:11], v[12:13], v[8:9]
	global_load_dwordx4 v[12:15], v[22:23], off offset:624
	ds_read_b128 v[8:11], v196 offset:29792
	ds_write_b128 v196, v[16:19] offset:24304
	s_waitcnt vmcnt(0) lgkmcnt(1)
	v_mul_f64 v[16:17], v[10:11], v[14:15]
	v_fma_f64 v[16:17], v[8:9], v[12:13], -v[16:17]
	v_mul_f64 v[8:9], v[8:9], v[14:15]
	v_fma_f64 v[18:19], v[10:11], v[12:13], v[8:9]
	global_load_dwordx4 v[12:15], v[28:29], off offset:2016
	ds_read_b128 v[8:11], v196 offset:35280
	;; [unrolled: 8-line block ×4, first 2 shown]
	v_add_co_u32 v20, vcc_lo, 0xe000, v197
	v_add_co_ci_u32_e32 v21, vcc_lo, 0, v204, vcc_lo
	ds_write_b128 v196, v[16:19] offset:3136
	s_waitcnt vmcnt(0) lgkmcnt(1)
	v_mul_f64 v[16:17], v[10:11], v[14:15]
	v_fma_f64 v[16:17], v[8:9], v[12:13], -v[16:17]
	v_mul_f64 v[8:9], v[8:9], v[14:15]
	v_fma_f64 v[18:19], v[10:11], v[12:13], v[8:9]
	global_load_dwordx4 v[12:15], v[24:25], off offset:1328
	ds_read_b128 v[8:11], v196 offset:14112
	v_add_co_u32 v24, vcc_lo, 0xf800, v197
	v_add_co_ci_u32_e32 v25, vcc_lo, 0, v204, vcc_lo
	ds_write_b128 v196, v[16:19] offset:8624
	s_waitcnt vmcnt(0) lgkmcnt(1)
	v_mul_f64 v[16:17], v[10:11], v[14:15]
	v_fma_f64 v[16:17], v[8:9], v[12:13], -v[16:17]
	v_mul_f64 v[8:9], v[8:9], v[14:15]
	v_fma_f64 v[18:19], v[10:11], v[12:13], v[8:9]
	global_load_dwordx4 v[12:15], v[20:21], off offset:672
	ds_read_b128 v[8:11], v196 offset:19600
	ds_write_b128 v196, v[16:19] offset:14112
	s_waitcnt vmcnt(0) lgkmcnt(1)
	v_mul_f64 v[16:17], v[10:11], v[14:15]
	v_fma_f64 v[16:17], v[8:9], v[12:13], -v[16:17]
	v_mul_f64 v[8:9], v[8:9], v[14:15]
	v_fma_f64 v[18:19], v[10:11], v[12:13], v[8:9]
	global_load_dwordx4 v[12:15], v[24:25], off offset:16
	ds_read_b128 v[8:11], v196 offset:25088
	ds_write_b128 v196, v[16:19] offset:19600
	s_waitcnt vmcnt(0) lgkmcnt(1)
	v_mul_f64 v[16:17], v[10:11], v[14:15]
	v_fma_f64 v[16:17], v[8:9], v[12:13], -v[16:17]
	v_mul_f64 v[8:9], v[8:9], v[14:15]
	v_fma_f64 v[18:19], v[10:11], v[12:13], v[8:9]
	global_load_dwordx4 v[12:15], v[22:23], off offset:1408
	ds_read_b128 v[8:11], v196 offset:30576
	v_add_co_u32 v22, vcc_lo, 0x12000, v197
	v_add_co_ci_u32_e32 v23, vcc_lo, 0, v204, vcc_lo
	ds_write_b128 v196, v[16:19] offset:25088
	s_waitcnt vmcnt(0) lgkmcnt(1)
	v_mul_f64 v[16:17], v[10:11], v[14:15]
	v_fma_f64 v[16:17], v[8:9], v[12:13], -v[16:17]
	v_mul_f64 v[8:9], v[8:9], v[14:15]
	v_fma_f64 v[18:19], v[10:11], v[12:13], v[8:9]
	global_load_dwordx4 v[12:15], v[22:23], off offset:752
	ds_read_b128 v[8:11], v196 offset:36064
	ds_write_b128 v196, v[16:19] offset:30576
	s_waitcnt vmcnt(0) lgkmcnt(1)
	v_mul_f64 v[16:17], v[10:11], v[14:15]
	v_fma_f64 v[16:17], v[8:9], v[12:13], -v[16:17]
	v_mul_f64 v[8:9], v[8:9], v[14:15]
	v_fma_f64 v[18:19], v[10:11], v[12:13], v[8:9]
	global_load_dwordx4 v[12:15], v[26:27], off offset:1376
	ds_read_b128 v[8:11], v196 offset:3920
	v_add_co_u32 v26, vcc_lo, 0xb800, v197
	v_add_co_ci_u32_e32 v27, vcc_lo, 0, v204, vcc_lo
	ds_write_b128 v196, v[16:19] offset:36064
	s_waitcnt vmcnt(0) lgkmcnt(1)
	v_mul_f64 v[16:17], v[10:11], v[14:15]
	v_fma_f64 v[16:17], v[8:9], v[12:13], -v[16:17]
	v_mul_f64 v[8:9], v[8:9], v[14:15]
	v_fma_f64 v[18:19], v[10:11], v[12:13], v[8:9]
	global_load_dwordx4 v[12:15], v[26:27], off offset:720
	ds_read_b128 v[8:11], v196 offset:9408
	ds_write_b128 v196, v[16:19] offset:3920
	s_waitcnt vmcnt(0) lgkmcnt(1)
	v_mul_f64 v[16:17], v[10:11], v[14:15]
	v_fma_f64 v[16:17], v[8:9], v[12:13], -v[16:17]
	v_mul_f64 v[8:9], v[8:9], v[14:15]
	v_fma_f64 v[18:19], v[10:11], v[12:13], v[8:9]
	global_load_dwordx4 v[12:15], v[2:3], off offset:64
	ds_read_b128 v[8:11], v196 offset:14896
	;; [unrolled: 8-line block ×9, first 2 shown]
	ds_write_b128 v196, v[16:19] offset:10192
	s_waitcnt vmcnt(0) lgkmcnt(1)
	v_mul_f64 v[12:13], v[10:11], v[2:3]
	v_mul_f64 v[2:3], v[8:9], v[2:3]
	v_fma_f64 v[12:13], v[8:9], v[0:1], -v[12:13]
	v_fma_f64 v[14:15], v[10:11], v[0:1], v[2:3]
	global_load_dwordx4 v[8:11], v[4:5], off offset:192
	ds_read_b128 v[0:3], v196 offset:21168
	ds_write_b128 v196, v[12:15] offset:15680
	s_waitcnt vmcnt(0) lgkmcnt(1)
	v_mul_f64 v[4:5], v[2:3], v[10:11]
	v_fma_f64 v[12:13], v[0:1], v[8:9], -v[4:5]
	v_mul_f64 v[0:1], v[0:1], v[10:11]
	v_fma_f64 v[14:15], v[2:3], v[8:9], v[0:1]
	global_load_dwordx4 v[8:11], v[24:25], off offset:1584
	ds_read_b128 v[0:3], v196 offset:26656
	ds_write_b128 v196, v[12:15] offset:21168
	s_waitcnt vmcnt(0) lgkmcnt(1)
	v_mul_f64 v[4:5], v[2:3], v[10:11]
	v_fma_f64 v[12:13], v[0:1], v[8:9], -v[4:5]
	global_load_dwordx4 v[4:7], v[6:7], off offset:928
	v_mul_f64 v[0:1], v[0:1], v[10:11]
	v_fma_f64 v[14:15], v[2:3], v[8:9], v[0:1]
	ds_read_b128 v[0:3], v196 offset:32144
	ds_write_b128 v196, v[12:15] offset:26656
	s_waitcnt vmcnt(0) lgkmcnt(1)
	v_mul_f64 v[8:9], v[2:3], v[6:7]
	v_fma_f64 v[8:9], v[0:1], v[4:5], -v[8:9]
	v_mul_f64 v[0:1], v[0:1], v[6:7]
	v_fma_f64 v[10:11], v[2:3], v[4:5], v[0:1]
	v_add_co_u32 v4, vcc_lo, 0x12800, v197
	v_add_co_ci_u32_e32 v5, vcc_lo, 0, v204, vcc_lo
	ds_read_b128 v[0:3], v196 offset:37632
	global_load_dwordx4 v[4:7], v[4:5], off offset:272
	ds_write_b128 v196, v[8:11] offset:32144
	s_waitcnt vmcnt(0) lgkmcnt(1)
	v_mul_f64 v[8:9], v[2:3], v[6:7]
	v_fma_f64 v[8:9], v[0:1], v[4:5], -v[8:9]
	v_mul_f64 v[0:1], v[0:1], v[6:7]
	v_fma_f64 v[10:11], v[2:3], v[4:5], v[0:1]
	ds_write_b128 v196, v[8:11] offset:37632
	s_waitcnt lgkmcnt(0)
	s_barrier
	buffer_gl0_inv
	ds_read_b128 v[68:71], v196
	ds_read_b128 v[188:191], v196 offset:5488
	ds_read_b128 v[180:183], v196 offset:10976
	;; [unrolled: 1-line block ×48, first 2 shown]
	s_waitcnt lgkmcnt(42)
	v_add_f64 v[197:198], v[188:189], v[192:193]
	v_add_f64 v[188:189], v[188:189], -v[192:193]
	v_add_f64 v[192:193], v[180:181], v[184:185]
	v_add_f64 v[199:200], v[190:191], v[194:195]
	v_add_f64 v[190:191], v[190:191], -v[194:195]
	v_add_f64 v[194:195], v[182:183], v[186:187]
	v_add_f64 v[180:181], v[180:181], -v[184:185]
	v_add_f64 v[182:183], v[182:183], -v[186:187]
	v_add_f64 v[184:185], v[172:173], v[176:177]
	v_add_f64 v[186:187], v[174:175], v[178:179]
	v_add_f64 v[172:173], v[176:177], -v[172:173]
	v_add_f64 v[174:175], v[178:179], -v[174:175]
	s_waitcnt lgkmcnt(0)
	s_barrier
	buffer_gl0_inv
	v_add_f64 v[176:177], v[192:193], v[197:198]
	v_add_f64 v[201:202], v[192:193], -v[197:198]
	v_add_f64 v[178:179], v[194:195], v[199:200]
	v_add_f64 v[203:204], v[194:195], -v[199:200]
	v_add_f64 v[197:198], v[197:198], -v[184:185]
	;; [unrolled: 1-line block ×3, first 2 shown]
	v_add_f64 v[205:206], v[172:173], v[180:181]
	v_add_f64 v[207:208], v[174:175], v[182:183]
	v_add_f64 v[211:212], v[174:175], -v[182:183]
	v_add_f64 v[199:200], v[199:200], -v[186:187]
	;; [unrolled: 1-line block ×8, first 2 shown]
	v_add_f64 v[176:177], v[184:185], v[176:177]
	v_add_f64 v[178:179], v[186:187], v[178:179]
	;; [unrolled: 1-line block ×4, first 2 shown]
	v_mul_f64 v[188:189], v[197:198], s[26:27]
	v_mul_f64 v[197:198], v[192:193], s[6:7]
	;; [unrolled: 1-line block ×8, first 2 shown]
	v_add_f64 v[68:69], v[68:69], v[176:177]
	v_add_f64 v[70:71], v[70:71], v[178:179]
	v_fma_f64 v[192:193], v[192:193], s[6:7], v[188:189]
	v_fma_f64 v[197:198], v[201:202], s[14:15], -v[197:198]
	v_fma_f64 v[182:183], v[182:183], s[4:5], -v[207:208]
	v_fma_f64 v[194:195], v[194:195], s[6:7], v[190:191]
	v_fma_f64 v[199:200], v[203:204], s[14:15], -v[199:200]
	v_fma_f64 v[188:189], v[201:202], s[16:17], -v[188:189]
	;; [unrolled: 1-line block ×3, first 2 shown]
	v_fma_f64 v[201:202], v[172:173], s[18:19], v[205:206]
	v_fma_f64 v[203:204], v[174:175], s[18:19], v[207:208]
	v_fma_f64 v[180:181], v[180:181], s[4:5], -v[205:206]
	v_fma_f64 v[172:173], v[172:173], s[8:9], v[209:210]
	v_fma_f64 v[174:175], v[174:175], s[8:9], v[211:212]
	;; [unrolled: 1-line block ×10, first 2 shown]
	v_add_f64 v[197:198], v[197:198], v[176:177]
	v_add_f64 v[188:189], v[188:189], v[176:177]
	;; [unrolled: 1-line block ×6, first 2 shown]
	v_add_f64 v[180:181], v[197:198], -v[207:208]
	v_add_f64 v[184:185], v[197:198], v[207:208]
	v_add_f64 v[197:198], v[164:165], v[168:169]
	v_add_f64 v[164:165], v[164:165], -v[168:169]
	v_add_f64 v[168:169], v[156:157], v[160:161]
	v_add_f64 v[182:183], v[205:206], v[199:200]
	v_add_f64 v[186:187], v[199:200], -v[205:206]
	v_add_f64 v[199:200], v[166:167], v[170:171]
	v_add_f64 v[166:167], v[166:167], -v[170:171]
	;; [unrolled: 2-line block ×3, first 2 shown]
	v_add_f64 v[158:159], v[158:159], -v[162:163]
	v_add_f64 v[160:161], v[148:149], v[152:153]
	v_add_f64 v[162:163], v[150:151], v[154:155]
	v_add_f64 v[148:149], v[152:153], -v[148:149]
	v_add_f64 v[150:151], v[154:155], -v[150:151]
	;; [unrolled: 1-line block ×3, first 2 shown]
	v_add_f64 v[176:177], v[188:189], v[211:212]
	v_add_f64 v[188:189], v[188:189], -v[211:212]
	v_add_f64 v[194:195], v[201:202], v[194:195]
	v_add_f64 v[172:173], v[192:193], v[203:204]
	v_add_f64 v[178:179], v[190:191], -v[209:210]
	v_add_f64 v[190:191], v[209:210], v[190:191]
	v_add_f64 v[192:193], v[192:193], -v[203:204]
	;; [unrolled: 2-line block ×4, first 2 shown]
	v_add_f64 v[197:198], v[197:198], -v[160:161]
	v_add_f64 v[168:169], v[160:161], -v[168:169]
	v_add_f64 v[205:206], v[148:149], v[156:157]
	v_add_f64 v[207:208], v[150:151], v[158:159]
	v_add_f64 v[211:212], v[150:151], -v[158:159]
	v_add_f64 v[199:200], v[199:200], -v[162:163]
	v_add_f64 v[170:171], v[162:163], -v[170:171]
	v_add_f64 v[209:210], v[148:149], -v[156:157]
	v_add_f64 v[148:149], v[164:165], -v[148:149]
	v_add_f64 v[156:157], v[156:157], -v[164:165]
	v_add_f64 v[158:159], v[158:159], -v[166:167]
	v_add_f64 v[150:151], v[166:167], -v[150:151]
	v_add_f64 v[152:153], v[160:161], v[152:153]
	v_add_f64 v[154:155], v[162:163], v[154:155]
	;; [unrolled: 1-line block ×4, first 2 shown]
	v_mul_f64 v[164:165], v[197:198], s[26:27]
	v_mul_f64 v[197:198], v[168:169], s[6:7]
	;; [unrolled: 1-line block ×8, first 2 shown]
	v_add_f64 v[64:65], v[64:65], v[152:153]
	v_add_f64 v[66:67], v[66:67], v[154:155]
	v_fma_f64 v[168:169], v[168:169], s[6:7], v[164:165]
	v_fma_f64 v[197:198], v[201:202], s[14:15], -v[197:198]
	v_fma_f64 v[158:159], v[158:159], s[4:5], -v[207:208]
	v_fma_f64 v[170:171], v[170:171], s[6:7], v[166:167]
	v_fma_f64 v[199:200], v[203:204], s[14:15], -v[199:200]
	v_fma_f64 v[164:165], v[201:202], s[16:17], -v[164:165]
	;; [unrolled: 1-line block ×3, first 2 shown]
	v_fma_f64 v[201:202], v[148:149], s[18:19], v[205:206]
	v_fma_f64 v[203:204], v[150:151], s[18:19], v[207:208]
	v_fma_f64 v[156:157], v[156:157], s[4:5], -v[205:206]
	v_fma_f64 v[152:153], v[152:153], s[20:21], v[64:65]
	v_fma_f64 v[148:149], v[148:149], s[8:9], v[209:210]
	;; [unrolled: 1-line block ×8, first 2 shown]
	v_add_f64 v[197:198], v[197:198], v[152:153]
	v_fma_f64 v[209:210], v[160:161], s[2:3], v[148:149]
	v_add_f64 v[164:165], v[164:165], v[152:153]
	v_fma_f64 v[211:212], v[162:163], s[2:3], v[150:151]
	v_add_f64 v[168:169], v[168:169], v[152:153]
	v_add_f64 v[199:200], v[199:200], v[154:155]
	;; [unrolled: 1-line block ×4, first 2 shown]
	v_add_f64 v[156:157], v[197:198], -v[207:208]
	v_add_f64 v[160:161], v[197:198], v[207:208]
	v_add_f64 v[197:198], v[140:141], v[144:145]
	v_add_f64 v[140:141], v[140:141], -v[144:145]
	v_add_f64 v[144:145], v[132:133], v[136:137]
	v_add_f64 v[158:159], v[205:206], v[199:200]
	v_add_f64 v[162:163], v[199:200], -v[205:206]
	v_add_f64 v[199:200], v[142:143], v[146:147]
	v_add_f64 v[142:143], v[142:143], -v[146:147]
	;; [unrolled: 2-line block ×3, first 2 shown]
	v_add_f64 v[134:135], v[134:135], -v[138:139]
	v_add_f64 v[136:137], v[124:125], v[128:129]
	v_add_f64 v[138:139], v[126:127], v[130:131]
	v_add_f64 v[124:125], v[128:129], -v[124:125]
	v_add_f64 v[126:127], v[130:131], -v[126:127]
	;; [unrolled: 1-line block ×3, first 2 shown]
	v_add_f64 v[152:153], v[164:165], v[211:212]
	v_add_f64 v[164:165], v[164:165], -v[211:212]
	v_add_f64 v[170:171], v[201:202], v[170:171]
	v_add_f64 v[148:149], v[168:169], v[203:204]
	v_add_f64 v[154:155], v[166:167], -v[209:210]
	v_add_f64 v[166:167], v[209:210], v[166:167]
	v_add_f64 v[168:169], v[168:169], -v[203:204]
	;; [unrolled: 2-line block ×4, first 2 shown]
	v_add_f64 v[197:198], v[197:198], -v[136:137]
	v_add_f64 v[144:145], v[136:137], -v[144:145]
	v_add_f64 v[205:206], v[124:125], v[132:133]
	v_add_f64 v[207:208], v[126:127], v[134:135]
	v_add_f64 v[211:212], v[126:127], -v[134:135]
	v_add_f64 v[199:200], v[199:200], -v[138:139]
	;; [unrolled: 1-line block ×8, first 2 shown]
	v_add_f64 v[128:129], v[136:137], v[128:129]
	v_add_f64 v[130:131], v[138:139], v[130:131]
	;; [unrolled: 1-line block ×4, first 2 shown]
	v_mul_f64 v[140:141], v[197:198], s[26:27]
	v_mul_f64 v[197:198], v[144:145], s[6:7]
	;; [unrolled: 1-line block ×8, first 2 shown]
	v_add_f64 v[60:61], v[60:61], v[128:129]
	v_add_f64 v[62:63], v[62:63], v[130:131]
	v_fma_f64 v[144:145], v[144:145], s[6:7], v[140:141]
	v_fma_f64 v[197:198], v[201:202], s[14:15], -v[197:198]
	v_fma_f64 v[134:135], v[134:135], s[4:5], -v[207:208]
	v_fma_f64 v[146:147], v[146:147], s[6:7], v[142:143]
	v_fma_f64 v[199:200], v[203:204], s[14:15], -v[199:200]
	v_fma_f64 v[140:141], v[201:202], s[16:17], -v[140:141]
	;; [unrolled: 1-line block ×3, first 2 shown]
	v_fma_f64 v[201:202], v[124:125], s[18:19], v[205:206]
	v_fma_f64 v[203:204], v[126:127], s[18:19], v[207:208]
	v_fma_f64 v[132:133], v[132:133], s[4:5], -v[205:206]
	v_fma_f64 v[128:129], v[128:129], s[20:21], v[60:61]
	v_fma_f64 v[124:125], v[124:125], s[8:9], v[209:210]
	;; [unrolled: 1-line block ×8, first 2 shown]
	v_add_f64 v[197:198], v[197:198], v[128:129]
	v_fma_f64 v[209:210], v[136:137], s[2:3], v[124:125]
	v_add_f64 v[140:141], v[140:141], v[128:129]
	v_fma_f64 v[211:212], v[138:139], s[2:3], v[126:127]
	v_add_f64 v[144:145], v[144:145], v[128:129]
	v_add_f64 v[199:200], v[199:200], v[130:131]
	;; [unrolled: 1-line block ×4, first 2 shown]
	v_add_f64 v[132:133], v[197:198], -v[207:208]
	v_add_f64 v[136:137], v[197:198], v[207:208]
	v_add_f64 v[197:198], v[116:117], v[120:121]
	v_add_f64 v[116:117], v[116:117], -v[120:121]
	v_add_f64 v[120:121], v[108:109], v[112:113]
	v_add_f64 v[134:135], v[205:206], v[199:200]
	v_add_f64 v[138:139], v[199:200], -v[205:206]
	v_add_f64 v[199:200], v[118:119], v[122:123]
	v_add_f64 v[118:119], v[118:119], -v[122:123]
	;; [unrolled: 2-line block ×3, first 2 shown]
	v_add_f64 v[110:111], v[110:111], -v[114:115]
	v_add_f64 v[112:113], v[100:101], v[104:105]
	v_add_f64 v[114:115], v[102:103], v[106:107]
	v_add_f64 v[100:101], v[104:105], -v[100:101]
	v_add_f64 v[102:103], v[106:107], -v[102:103]
	;; [unrolled: 1-line block ×3, first 2 shown]
	v_add_f64 v[128:129], v[140:141], v[211:212]
	v_add_f64 v[140:141], v[140:141], -v[211:212]
	v_add_f64 v[146:147], v[201:202], v[146:147]
	v_add_f64 v[124:125], v[144:145], v[203:204]
	v_add_f64 v[130:131], v[142:143], -v[209:210]
	v_add_f64 v[142:143], v[209:210], v[142:143]
	v_add_f64 v[144:145], v[144:145], -v[203:204]
	;; [unrolled: 2-line block ×4, first 2 shown]
	v_add_f64 v[197:198], v[197:198], -v[112:113]
	v_add_f64 v[120:121], v[112:113], -v[120:121]
	v_add_f64 v[205:206], v[100:101], v[108:109]
	v_add_f64 v[207:208], v[102:103], v[110:111]
	v_add_f64 v[211:212], v[102:103], -v[110:111]
	v_add_f64 v[199:200], v[199:200], -v[114:115]
	;; [unrolled: 1-line block ×8, first 2 shown]
	v_add_f64 v[104:105], v[112:113], v[104:105]
	v_add_f64 v[106:107], v[114:115], v[106:107]
	v_add_f64 v[112:113], v[205:206], v[116:117]
	v_add_f64 v[114:115], v[207:208], v[118:119]
	v_mul_f64 v[116:117], v[197:198], s[26:27]
	v_mul_f64 v[197:198], v[120:121], s[6:7]
	;; [unrolled: 1-line block ×8, first 2 shown]
	v_add_f64 v[56:57], v[56:57], v[104:105]
	v_add_f64 v[58:59], v[58:59], v[106:107]
	v_fma_f64 v[120:121], v[120:121], s[6:7], v[116:117]
	v_fma_f64 v[197:198], v[201:202], s[14:15], -v[197:198]
	v_fma_f64 v[110:111], v[110:111], s[4:5], -v[207:208]
	v_fma_f64 v[122:123], v[122:123], s[6:7], v[118:119]
	v_fma_f64 v[199:200], v[203:204], s[14:15], -v[199:200]
	v_fma_f64 v[116:117], v[201:202], s[16:17], -v[116:117]
	v_fma_f64 v[118:119], v[203:204], s[16:17], -v[118:119]
	v_fma_f64 v[201:202], v[100:101], s[18:19], v[205:206]
	v_fma_f64 v[203:204], v[102:103], s[18:19], v[207:208]
	v_fma_f64 v[108:109], v[108:109], s[4:5], -v[205:206]
	v_fma_f64 v[104:105], v[104:105], s[20:21], v[56:57]
	v_fma_f64 v[100:101], v[100:101], s[8:9], v[209:210]
	;; [unrolled: 1-line block ×8, first 2 shown]
	v_add_f64 v[197:198], v[197:198], v[104:105]
	v_fma_f64 v[209:210], v[112:113], s[2:3], v[100:101]
	v_add_f64 v[116:117], v[116:117], v[104:105]
	v_fma_f64 v[211:212], v[114:115], s[2:3], v[102:103]
	v_add_f64 v[120:121], v[120:121], v[104:105]
	v_add_f64 v[199:200], v[199:200], v[106:107]
	;; [unrolled: 1-line block ×4, first 2 shown]
	v_add_f64 v[108:109], v[197:198], -v[207:208]
	v_add_f64 v[112:113], v[197:198], v[207:208]
	v_add_f64 v[197:198], v[92:93], v[96:97]
	v_add_f64 v[92:93], v[92:93], -v[96:97]
	v_add_f64 v[96:97], v[84:85], v[88:89]
	v_add_f64 v[110:111], v[205:206], v[199:200]
	v_add_f64 v[114:115], v[199:200], -v[205:206]
	v_add_f64 v[199:200], v[94:95], v[98:99]
	v_add_f64 v[94:95], v[94:95], -v[98:99]
	;; [unrolled: 2-line block ×3, first 2 shown]
	v_add_f64 v[86:87], v[86:87], -v[90:91]
	v_add_f64 v[88:89], v[76:77], v[80:81]
	v_add_f64 v[90:91], v[78:79], v[82:83]
	v_add_f64 v[76:77], v[80:81], -v[76:77]
	v_add_f64 v[78:79], v[82:83], -v[78:79]
	;; [unrolled: 1-line block ×3, first 2 shown]
	v_add_f64 v[104:105], v[116:117], v[211:212]
	v_add_f64 v[116:117], v[116:117], -v[211:212]
	v_add_f64 v[122:123], v[201:202], v[122:123]
	v_add_f64 v[100:101], v[120:121], v[203:204]
	v_add_f64 v[106:107], v[118:119], -v[209:210]
	v_add_f64 v[118:119], v[209:210], v[118:119]
	v_add_f64 v[120:121], v[120:121], -v[203:204]
	;; [unrolled: 2-line block ×4, first 2 shown]
	v_add_f64 v[197:198], v[197:198], -v[88:89]
	v_add_f64 v[96:97], v[88:89], -v[96:97]
	v_add_f64 v[205:206], v[76:77], v[84:85]
	v_add_f64 v[207:208], v[78:79], v[86:87]
	v_add_f64 v[211:212], v[78:79], -v[86:87]
	v_add_f64 v[199:200], v[199:200], -v[90:91]
	;; [unrolled: 1-line block ×8, first 2 shown]
	v_add_f64 v[80:81], v[88:89], v[80:81]
	v_add_f64 v[82:83], v[90:91], v[82:83]
	;; [unrolled: 1-line block ×4, first 2 shown]
	v_mul_f64 v[92:93], v[197:198], s[26:27]
	v_mul_f64 v[197:198], v[96:97], s[6:7]
	;; [unrolled: 1-line block ×8, first 2 shown]
	v_add_f64 v[48:49], v[48:49], v[80:81]
	v_add_f64 v[50:51], v[50:51], v[82:83]
	v_fma_f64 v[96:97], v[96:97], s[6:7], v[92:93]
	v_fma_f64 v[197:198], v[201:202], s[14:15], -v[197:198]
	v_fma_f64 v[86:87], v[86:87], s[4:5], -v[207:208]
	v_fma_f64 v[98:99], v[98:99], s[6:7], v[94:95]
	v_fma_f64 v[199:200], v[203:204], s[14:15], -v[199:200]
	v_fma_f64 v[92:93], v[201:202], s[16:17], -v[92:93]
	;; [unrolled: 1-line block ×3, first 2 shown]
	v_fma_f64 v[201:202], v[76:77], s[18:19], v[205:206]
	v_fma_f64 v[203:204], v[78:79], s[18:19], v[207:208]
	v_fma_f64 v[84:85], v[84:85], s[4:5], -v[205:206]
	v_fma_f64 v[80:81], v[80:81], s[20:21], v[48:49]
	v_fma_f64 v[76:77], v[76:77], s[8:9], v[209:210]
	;; [unrolled: 1-line block ×8, first 2 shown]
	v_add_f64 v[197:198], v[197:198], v[80:81]
	v_fma_f64 v[209:210], v[88:89], s[2:3], v[76:77]
	v_add_f64 v[92:93], v[92:93], v[80:81]
	v_fma_f64 v[211:212], v[90:91], s[2:3], v[78:79]
	v_add_f64 v[96:97], v[96:97], v[80:81]
	v_add_f64 v[199:200], v[199:200], v[82:83]
	;; [unrolled: 1-line block ×4, first 2 shown]
	v_add_f64 v[84:85], v[197:198], -v[207:208]
	v_add_f64 v[88:89], v[197:198], v[207:208]
	v_add_f64 v[197:198], v[4:5], v[0:1]
	v_add_f64 v[0:1], v[4:5], -v[0:1]
	v_add_f64 v[4:5], v[12:13], v[8:9]
	v_add_f64 v[86:87], v[205:206], v[199:200]
	v_add_f64 v[90:91], v[199:200], -v[205:206]
	v_add_f64 v[199:200], v[6:7], v[2:3]
	v_add_f64 v[2:3], v[6:7], -v[2:3]
	;; [unrolled: 2-line block ×3, first 2 shown]
	v_add_f64 v[10:11], v[14:15], -v[10:11]
	v_add_f64 v[12:13], v[20:21], v[16:17]
	v_add_f64 v[14:15], v[22:23], v[18:19]
	v_add_f64 v[16:17], v[16:17], -v[20:21]
	v_add_f64 v[18:19], v[18:19], -v[22:23]
	;; [unrolled: 1-line block ×3, first 2 shown]
	v_add_f64 v[80:81], v[92:93], v[211:212]
	v_add_f64 v[92:93], v[92:93], -v[211:212]
	v_add_f64 v[98:99], v[201:202], v[98:99]
	v_add_f64 v[76:77], v[96:97], v[203:204]
	v_add_f64 v[82:83], v[94:95], -v[209:210]
	v_add_f64 v[94:95], v[209:210], v[94:95]
	v_add_f64 v[96:97], v[96:97], -v[203:204]
	;; [unrolled: 2-line block ×4, first 2 shown]
	v_add_f64 v[197:198], v[197:198], -v[12:13]
	v_add_f64 v[4:5], v[12:13], -v[4:5]
	v_add_f64 v[205:206], v[16:17], v[8:9]
	v_add_f64 v[207:208], v[18:19], v[10:11]
	v_add_f64 v[211:212], v[18:19], -v[10:11]
	v_add_f64 v[199:200], v[199:200], -v[14:15]
	;; [unrolled: 1-line block ×8, first 2 shown]
	v_add_f64 v[12:13], v[12:13], v[20:21]
	v_add_f64 v[14:15], v[14:15], v[22:23]
	v_add_f64 v[20:21], v[205:206], v[0:1]
	v_add_f64 v[22:23], v[207:208], v[2:3]
	v_mul_f64 v[207:208], v[211:212], s[22:23]
	v_mul_f64 v[205:206], v[209:210], s[22:23]
	;; [unrolled: 1-line block ×4, first 2 shown]
	v_add_f64 v[0:1], v[52:53], v[12:13]
	v_mul_f64 v[52:53], v[197:198], s[26:27]
	v_mul_f64 v[197:198], v[4:5], s[6:7]
	v_add_f64 v[2:3], v[54:55], v[14:15]
	v_mul_f64 v[54:55], v[199:200], s[26:27]
	v_mul_f64 v[199:200], v[6:7], s[6:7]
	v_fma_f64 v[10:11], v[10:11], s[4:5], -v[207:208]
	v_fma_f64 v[8:9], v[8:9], s[4:5], -v[205:206]
	v_fma_f64 v[12:13], v[12:13], s[20:21], v[0:1]
	v_fma_f64 v[4:5], v[4:5], s[6:7], v[52:53]
	v_fma_f64 v[197:198], v[201:202], s[14:15], -v[197:198]
	v_fma_f64 v[52:53], v[201:202], s[16:17], -v[52:53]
	v_fma_f64 v[201:202], v[16:17], s[18:19], v[205:206]
	v_fma_f64 v[14:15], v[14:15], s[20:21], v[2:3]
	;; [unrolled: 1-line block ×3, first 2 shown]
	v_fma_f64 v[199:200], v[203:204], s[14:15], -v[199:200]
	v_fma_f64 v[6:7], v[6:7], s[6:7], v[54:55]
	v_fma_f64 v[54:55], v[203:204], s[16:17], -v[54:55]
	v_fma_f64 v[203:204], v[18:19], s[18:19], v[207:208]
	v_fma_f64 v[18:19], v[18:19], s[8:9], v[211:212]
	;; [unrolled: 1-line block ×4, first 2 shown]
	v_add_f64 v[4:5], v[4:5], v[12:13]
	v_add_f64 v[197:198], v[197:198], v[12:13]
	;; [unrolled: 1-line block ×3, first 2 shown]
	v_fma_f64 v[201:202], v[20:21], s[2:3], v[201:202]
	v_fma_f64 v[209:210], v[20:21], s[2:3], v[16:17]
	v_add_f64 v[199:200], v[199:200], v[14:15]
	v_add_f64 v[6:7], v[6:7], v[14:15]
	;; [unrolled: 1-line block ×3, first 2 shown]
	v_fma_f64 v[203:204], v[22:23], s[2:3], v[203:204]
	v_fma_f64 v[211:212], v[22:23], s[2:3], v[18:19]
	v_add_f64 v[16:17], v[197:198], -v[10:11]
	v_add_f64 v[12:13], v[197:198], v[10:11]
	v_add_f64 v[197:198], v[44:45], v[24:25]
	v_add_f64 v[24:25], v[44:45], -v[24:25]
	v_add_f64 v[44:45], v[28:29], v[36:37]
	v_add_f64 v[18:19], v[8:9], v[199:200]
	v_add_f64 v[14:15], v[199:200], -v[8:9]
	v_add_f64 v[199:200], v[46:47], v[26:27]
	v_add_f64 v[26:27], v[46:47], -v[26:27]
	v_add_f64 v[46:47], v[30:31], v[38:39]
	v_add_f64 v[28:29], v[28:29], -v[36:37]
	v_add_f64 v[30:31], v[30:31], -v[38:39]
	v_add_f64 v[36:37], v[40:41], v[32:33]
	v_add_f64 v[38:39], v[42:43], v[34:35]
	v_add_f64 v[32:33], v[32:33], -v[40:41]
	v_add_f64 v[34:35], v[34:35], -v[42:43]
	;; [unrolled: 1-line block ×3, first 2 shown]
	v_add_f64 v[20:21], v[205:206], v[211:212]
	v_add_f64 v[22:23], v[207:208], -v[209:210]
	v_add_f64 v[8:9], v[205:206], -v[211:212]
	v_add_f64 v[10:11], v[209:210], v[207:208]
	v_add_f64 v[6:7], v[201:202], v[6:7]
	;; [unrolled: 1-line block ×3, first 2 shown]
	v_add_f64 v[4:5], v[4:5], -v[203:204]
	v_add_f64 v[40:41], v[44:45], v[197:198]
	v_add_f64 v[201:202], v[44:45], -v[197:198]
	v_add_f64 v[42:43], v[46:47], v[199:200]
	v_add_f64 v[203:204], v[46:47], -v[199:200]
	v_add_f64 v[197:198], v[197:198], -v[36:37]
	;; [unrolled: 1-line block ×3, first 2 shown]
	v_add_f64 v[205:206], v[32:33], v[28:29]
	v_add_f64 v[207:208], v[34:35], v[30:31]
	v_add_f64 v[211:212], v[34:35], -v[30:31]
	v_add_f64 v[199:200], v[199:200], -v[38:39]
	;; [unrolled: 1-line block ×8, first 2 shown]
	v_add_f64 v[36:37], v[36:37], v[40:41]
	v_add_f64 v[38:39], v[38:39], v[42:43]
	;; [unrolled: 1-line block ×4, first 2 shown]
	v_mul_f64 v[207:208], v[211:212], s[22:23]
	v_mul_f64 v[205:206], v[209:210], s[22:23]
	;; [unrolled: 1-line block ×4, first 2 shown]
	v_add_f64 v[24:25], v[72:73], v[36:37]
	v_mul_f64 v[72:73], v[197:198], s[26:27]
	v_mul_f64 v[197:198], v[44:45], s[6:7]
	v_add_f64 v[26:27], v[74:75], v[38:39]
	v_mul_f64 v[74:75], v[199:200], s[26:27]
	v_mul_f64 v[199:200], v[46:47], s[6:7]
	v_fma_f64 v[30:31], v[30:31], s[4:5], -v[207:208]
	v_fma_f64 v[28:29], v[28:29], s[4:5], -v[205:206]
	v_fma_f64 v[36:37], v[36:37], s[20:21], v[24:25]
	v_fma_f64 v[44:45], v[44:45], s[6:7], v[72:73]
	v_fma_f64 v[197:198], v[201:202], s[14:15], -v[197:198]
	v_fma_f64 v[72:73], v[201:202], s[16:17], -v[72:73]
	v_fma_f64 v[201:202], v[32:33], s[18:19], v[205:206]
	v_fma_f64 v[32:33], v[32:33], s[8:9], v[209:210]
	;; [unrolled: 1-line block ×4, first 2 shown]
	v_fma_f64 v[199:200], v[203:204], s[14:15], -v[199:200]
	v_fma_f64 v[74:75], v[203:204], s[16:17], -v[74:75]
	v_fma_f64 v[203:204], v[34:35], s[18:19], v[207:208]
	v_fma_f64 v[34:35], v[34:35], s[8:9], v[211:212]
	;; [unrolled: 1-line block ×4, first 2 shown]
	v_add_f64 v[205:206], v[44:45], v[36:37]
	v_add_f64 v[197:198], v[197:198], v[36:37]
	v_add_f64 v[209:210], v[72:73], v[36:37]
	v_fma_f64 v[201:202], v[40:41], s[2:3], v[201:202]
	v_fma_f64 v[213:214], v[40:41], s[2:3], v[32:33]
	v_add_f64 v[207:208], v[46:47], v[38:39]
	v_add_f64 v[199:200], v[199:200], v[38:39]
	;; [unrolled: 1-line block ×3, first 2 shown]
	v_fma_f64 v[203:204], v[42:43], s[2:3], v[203:204]
	v_fma_f64 v[32:33], v[42:43], s[2:3], v[34:35]
	v_add_f64 v[40:41], v[197:198], -v[30:31]
	v_add_f64 v[36:37], v[197:198], v[30:31]
	buffer_load_dword v197, off, s[36:39], 0 offset:2764 ; 4-byte Folded Reload
	s_waitcnt vmcnt(0)
	ds_write_b128 v197, v[68:71]
	ds_write_b128 v197, v[172:175] offset:16
	ds_write_b128 v197, v[176:179] offset:32
	ds_write_b128 v197, v[180:183] offset:48
	ds_write_b128 v197, v[184:187] offset:64
	ds_write_b128 v197, v[188:191] offset:80
	ds_write_b128 v197, v[192:195] offset:96
	buffer_load_dword v68, off, s[36:39], 0 offset:2756 ; 4-byte Folded Reload
	s_waitcnt vmcnt(0)
	ds_write_b128 v68, v[64:67]
	ds_write_b128 v68, v[148:151] offset:16
	ds_write_b128 v68, v[152:155] offset:32
	ds_write_b128 v68, v[156:159] offset:48
	ds_write_b128 v68, v[160:163] offset:64
	ds_write_b128 v68, v[164:167] offset:80
	ds_write_b128 v68, v[168:171] offset:96
	;; [unrolled: 9-line block ×6, first 2 shown]
	buffer_load_dword v0, off, s[36:39], 0 offset:1132 ; 4-byte Folded Reload
	v_add_f64 v[72:73], v[205:206], v[203:204]
	v_add_f64 v[74:75], v[207:208], -v[201:202]
	v_add_f64 v[44:45], v[209:210], v[32:33]
	v_add_f64 v[46:47], v[211:212], -v[213:214]
	;; [unrolled: 2-line block ×3, first 2 shown]
	v_add_f64 v[32:33], v[209:210], -v[32:33]
	v_add_f64 v[34:35], v[213:214], v[211:212]
	v_add_f64 v[28:29], v[205:206], -v[203:204]
	v_add_f64 v[30:31], v[201:202], v[207:208]
	s_waitcnt vmcnt(0)
	ds_write_b128 v0, v[24:27]
	ds_write_b128 v0, v[72:75] offset:16
	ds_write_b128 v0, v[44:47] offset:32
	;; [unrolled: 1-line block ×6, first 2 shown]
	s_waitcnt lgkmcnt(0)
	s_barrier
	buffer_gl0_inv
	ds_read_b128 v[24:27], v196
	ds_read_b128 v[192:195], v196 offset:5488
	ds_read_b128 v[188:191], v196 offset:10976
	;; [unrolled: 1-line block ×48, first 2 shown]
	s_clause 0x3
	buffer_load_dword v2, off, s[36:39], 0 offset:1544
	buffer_load_dword v3, off, s[36:39], 0 offset:1548
	buffer_load_dword v4, off, s[36:39], 0 offset:1552
	buffer_load_dword v5, off, s[36:39], 0 offset:1556
	s_waitcnt vmcnt(0) lgkmcnt(47)
	v_mul_f64 v[0:1], v[4:5], v[194:195]
	v_fma_f64 v[197:198], v[2:3], v[192:193], v[0:1]
	v_mul_f64 v[0:1], v[4:5], v[192:193]
	v_fma_f64 v[192:193], v[2:3], v[194:195], -v[0:1]
	s_clause 0x3
	buffer_load_dword v2, off, s[36:39], 0 offset:1576
	buffer_load_dword v3, off, s[36:39], 0 offset:1580
	buffer_load_dword v4, off, s[36:39], 0 offset:1584
	buffer_load_dword v5, off, s[36:39], 0 offset:1588
	s_waitcnt vmcnt(0) lgkmcnt(46)
	v_mul_f64 v[0:1], v[4:5], v[190:191]
	v_fma_f64 v[194:195], v[2:3], v[188:189], v[0:1]
	v_mul_f64 v[0:1], v[4:5], v[188:189]
	v_fma_f64 v[188:189], v[2:3], v[190:191], -v[0:1]
	;; [unrolled: 10-line block ×33, first 2 shown]
	s_clause 0x3
	buffer_load_dword v66, off, s[36:39], 0 offset:2592
	buffer_load_dword v67, off, s[36:39], 0 offset:2596
	buffer_load_dword v68, off, s[36:39], 0 offset:2600
	buffer_load_dword v69, off, s[36:39], 0 offset:2604
	v_add_f64 v[70:71], v[180:181], -v[184:185]
	s_waitcnt vmcnt(0) lgkmcnt(9)
	v_mul_f64 v[64:65], v[68:69], v[62:63]
	v_fma_f64 v[252:253], v[66:67], v[60:61], v[64:65]
	v_mul_f64 v[60:61], v[68:69], v[60:61]
	v_add_f64 v[68:69], v[186:187], -v[190:191]
	v_fma_f64 v[254:255], v[66:67], v[62:63], -v[60:61]
	s_clause 0x3
	buffer_load_dword v62, off, s[36:39], 0 offset:2608
	buffer_load_dword v63, off, s[36:39], 0 offset:2612
	buffer_load_dword v64, off, s[36:39], 0 offset:2616
	buffer_load_dword v65, off, s[36:39], 0 offset:2620
	s_waitcnt vmcnt(0) lgkmcnt(8)
	v_mul_f64 v[60:61], v[64:65], v[58:59]
	v_fma_f64 v[60:61], v[62:63], v[56:57], v[60:61]
	v_mul_f64 v[56:57], v[64:65], v[56:57]
	v_fma_f64 v[200:201], v[62:63], v[58:59], -v[56:57]
	s_clause 0x3
	buffer_load_dword v62, off, s[36:39], 0 offset:2628
	buffer_load_dword v63, off, s[36:39], 0 offset:2632
	buffer_load_dword v64, off, s[36:39], 0 offset:2636
	buffer_load_dword v65, off, s[36:39], 0 offset:2640
	s_waitcnt vmcnt(0) lgkmcnt(7)
	v_mul_f64 v[56:57], v[64:65], v[54:55]
	v_fma_f64 v[56:57], v[62:63], v[52:53], v[56:57]
	v_mul_f64 v[52:53], v[64:65], v[52:53]
	;; [unrolled: 10-line block ×4, first 2 shown]
	s_clause 0x3
	buffer_load_dword v64, off, s[36:39], 0 offset:2680
	buffer_load_dword v65, off, s[36:39], 0 offset:2684
	;; [unrolled: 1-line block ×4, first 2 shown]
	v_fma_f64 v[62:63], v[62:63], v[46:47], -v[44:45]
	s_waitcnt vmcnt(0) lgkmcnt(3)
	v_mul_f64 v[44:45], v[66:67], v[42:43]
	v_fma_f64 v[58:59], v[64:65], v[40:41], v[44:45]
	s_clause 0x3
	buffer_load_dword v44, off, s[36:39], 0 offset:2696
	buffer_load_dword v45, off, s[36:39], 0 offset:2700
	;; [unrolled: 1-line block ×4, first 2 shown]
	v_mul_f64 v[40:41], v[66:67], v[40:41]
	v_add_f64 v[66:67], v[184:185], v[180:181]
	v_fma_f64 v[42:43], v[64:65], v[42:43], -v[40:41]
	v_add_f64 v[64:65], v[190:191], v[186:187]
	s_waitcnt vmcnt(0) lgkmcnt(2)
	v_mul_f64 v[40:41], v[46:47], v[38:39]
	v_fma_f64 v[40:41], v[44:45], v[36:37], v[40:41]
	v_mul_f64 v[36:37], v[46:47], v[36:37]
	v_fma_f64 v[94:95], v[44:45], v[38:39], -v[36:37]
	s_clause 0x3
	buffer_load_dword v44, off, s[36:39], 0 offset:2712
	buffer_load_dword v45, off, s[36:39], 0 offset:2716
	;; [unrolled: 1-line block ×4, first 2 shown]
	v_add_f64 v[38:39], v[188:189], v[220:221]
	s_waitcnt vmcnt(0) lgkmcnt(1)
	v_mul_f64 v[36:37], v[46:47], v[34:35]
	v_fma_f64 v[212:213], v[44:45], v[32:33], v[36:37]
	v_mul_f64 v[32:33], v[46:47], v[32:33]
	v_add_f64 v[46:47], v[188:189], -v[220:221]
	v_fma_f64 v[214:215], v[44:45], v[34:35], -v[32:33]
	s_clause 0x3
	buffer_load_dword v34, off, s[36:39], 0 offset:2728
	buffer_load_dword v35, off, s[36:39], 0 offset:2732
	;; [unrolled: 1-line block ×4, first 2 shown]
	v_add_f64 v[44:45], v[194:195], -v[182:183]
	v_add_f64 v[126:127], v[70:71], -v[46:47]
	v_add_f64 v[120:121], v[70:71], v[46:47]
	s_waitcnt vmcnt(0) lgkmcnt(0)
	s_barrier
	buffer_gl0_inv
	v_add_f64 v[122:123], v[68:69], -v[44:45]
	v_add_f64 v[82:83], v[68:69], v[44:45]
	v_mul_f64 v[32:33], v[36:37], v[30:31]
	v_fma_f64 v[232:233], v[34:35], v[28:29], v[32:33]
	v_mul_f64 v[28:29], v[36:37], v[28:29]
	v_add_f64 v[36:37], v[194:195], v[182:183]
	v_add_f64 v[32:33], v[197:198], -v[222:223]
	v_fma_f64 v[234:235], v[34:35], v[30:31], -v[28:29]
	v_add_f64 v[28:29], v[197:198], v[222:223]
	v_add_f64 v[30:31], v[192:193], v[168:169]
	v_add_f64 v[34:35], v[192:193], -v[168:169]
	v_add_f64 v[68:69], v[32:33], -v[68:69]
	;; [unrolled: 1-line block ×3, first 2 shown]
	v_add_f64 v[32:33], v[82:83], v[32:33]
	v_add_f64 v[72:73], v[36:37], v[28:29]
	;; [unrolled: 1-line block ×3, first 2 shown]
	v_add_f64 v[78:79], v[36:37], -v[28:29]
	v_add_f64 v[80:81], v[38:39], -v[30:31]
	;; [unrolled: 1-line block ×8, first 2 shown]
	v_add_f64 v[34:35], v[120:121], v[34:35]
	v_mul_f64 v[82:83], v[44:45], s[24:25]
	v_add_f64 v[64:65], v[64:65], v[72:73]
	v_add_f64 v[66:67], v[66:67], v[74:75]
	v_mul_f64 v[72:73], v[122:123], s[22:23]
	v_mul_f64 v[74:75], v[126:127], s[22:23]
	;; [unrolled: 1-line block ×3, first 2 shown]
	v_add_f64 v[148:149], v[24:25], v[64:65]
	v_add_f64 v[150:151], v[26:27], v[66:67]
	v_mul_f64 v[24:25], v[28:29], s[26:27]
	v_mul_f64 v[26:27], v[30:31], s[26:27]
	;; [unrolled: 1-line block ×4, first 2 shown]
	v_fma_f64 v[44:45], v[44:45], s[4:5], -v[72:73]
	v_fma_f64 v[46:47], v[46:47], s[4:5], -v[74:75]
	v_fma_f64 v[64:65], v[64:65], s[20:21], v[148:149]
	v_fma_f64 v[66:67], v[66:67], s[20:21], v[150:151]
	;; [unrolled: 1-line block ×4, first 2 shown]
	v_fma_f64 v[28:29], v[78:79], s[14:15], -v[28:29]
	v_fma_f64 v[30:31], v[80:81], s[14:15], -v[30:31]
	;; [unrolled: 1-line block ×4, first 2 shown]
	v_fma_f64 v[78:79], v[68:69], s[18:19], v[72:73]
	v_fma_f64 v[80:81], v[70:71], s[18:19], v[74:75]
	;; [unrolled: 1-line block ×6, first 2 shown]
	v_add_f64 v[36:37], v[36:37], v[64:65]
	v_add_f64 v[38:39], v[38:39], v[66:67]
	;; [unrolled: 1-line block ×6, first 2 shown]
	v_fma_f64 v[72:73], v[32:33], s[2:3], v[78:79]
	v_fma_f64 v[74:75], v[34:35], s[2:3], v[80:81]
	v_fma_f64 v[32:33], v[32:33], s[2:3], v[68:69]
	v_fma_f64 v[34:35], v[34:35], s[2:3], v[70:71]
	v_add_f64 v[68:69], v[162:163], -v[166:167]
	v_add_f64 v[70:71], v[156:157], -v[160:161]
	;; [unrolled: 1-line block ×3, first 2 shown]
	v_add_f64 v[182:183], v[44:45], v[30:31]
	v_add_f64 v[184:185], v[46:47], v[28:29]
	v_add_f64 v[186:187], v[30:31], -v[44:45]
	v_add_f64 v[170:171], v[38:39], -v[72:73]
	v_add_f64 v[168:169], v[74:75], v[36:37]
	v_add_f64 v[192:193], v[36:37], -v[74:75]
	v_add_f64 v[194:195], v[72:73], v[38:39]
	v_add_f64 v[28:29], v[176:177], v[154:155]
	;; [unrolled: 1-line block ×6, first 2 shown]
	v_add_f64 v[26:27], v[66:67], -v[32:33]
	v_add_f64 v[188:189], v[64:65], -v[34:35]
	v_add_f64 v[190:191], v[32:33], v[66:67]
	v_add_f64 v[32:33], v[176:177], -v[154:155]
	v_add_f64 v[34:35], v[172:173], -v[178:179]
	;; [unrolled: 1-line block ×4, first 2 shown]
	v_add_f64 v[64:65], v[166:167], v[162:163]
	v_add_f64 v[66:67], v[160:161], v[156:157]
	;; [unrolled: 1-line block ×4, first 2 shown]
	v_add_f64 v[78:79], v[36:37], -v[28:29]
	v_add_f64 v[120:121], v[38:39], -v[30:31]
	v_add_f64 v[80:81], v[68:69], v[44:45]
	v_add_f64 v[82:83], v[70:71], v[46:47]
	v_add_f64 v[28:29], v[28:29], -v[64:65]
	v_add_f64 v[30:31], v[30:31], -v[66:67]
	;; [unrolled: 1-line block ×10, first 2 shown]
	v_add_f64 v[64:65], v[64:65], v[72:73]
	v_add_f64 v[66:67], v[66:67], v[74:75]
	;; [unrolled: 1-line block ×4, first 2 shown]
	v_mul_f64 v[72:73], v[122:123], s[22:23]
	v_mul_f64 v[74:75], v[126:127], s[22:23]
	;; [unrolled: 1-line block ×4, first 2 shown]
	v_add_f64 v[80:81], v[20:21], v[64:65]
	v_add_f64 v[82:83], v[22:23], v[66:67]
	v_mul_f64 v[20:21], v[28:29], s[26:27]
	v_mul_f64 v[22:23], v[30:31], s[26:27]
	;; [unrolled: 1-line block ×4, first 2 shown]
	v_fma_f64 v[44:45], v[44:45], s[4:5], -v[72:73]
	v_fma_f64 v[46:47], v[46:47], s[4:5], -v[74:75]
	v_fma_f64 v[64:65], v[64:65], s[20:21], v[80:81]
	v_fma_f64 v[66:67], v[66:67], s[20:21], v[82:83]
	v_fma_f64 v[36:37], v[36:37], s[6:7], v[20:21]
	v_fma_f64 v[38:39], v[38:39], s[6:7], v[22:23]
	v_fma_f64 v[28:29], v[78:79], s[14:15], -v[28:29]
	v_fma_f64 v[30:31], v[120:121], s[14:15], -v[30:31]
	;; [unrolled: 1-line block ×4, first 2 shown]
	v_fma_f64 v[78:79], v[68:69], s[18:19], v[72:73]
	v_fma_f64 v[120:121], v[70:71], s[18:19], v[74:75]
	;; [unrolled: 1-line block ×6, first 2 shown]
	v_add_f64 v[36:37], v[36:37], v[64:65]
	v_add_f64 v[38:39], v[38:39], v[66:67]
	;; [unrolled: 1-line block ×6, first 2 shown]
	v_fma_f64 v[64:65], v[32:33], s[2:3], v[78:79]
	v_fma_f64 v[66:67], v[34:35], s[2:3], v[120:121]
	;; [unrolled: 1-line block ×4, first 2 shown]
	v_add_f64 v[164:165], v[28:29], -v[46:47]
	v_add_f64 v[166:167], v[44:45], v[30:31]
	v_add_f64 v[160:161], v[46:47], v[28:29]
	v_add_f64 v[162:163], v[30:31], -v[44:45]
	v_add_f64 v[178:179], v[38:39], -v[64:65]
	v_add_f64 v[176:177], v[66:67], v[36:37]
	v_add_f64 v[174:175], v[22:23], -v[32:33]
	v_add_f64 v[172:173], v[34:35], v[20:21]
	;; [unrolled: 2-line block ×3, first 2 shown]
	v_add_f64 v[20:21], v[236:237], v[130:131]
	v_add_f64 v[22:23], v[144:145], v[124:125]
	;; [unrolled: 1-line block ×4, first 2 shown]
	v_add_f64 v[152:153], v[36:37], -v[66:67]
	v_add_f64 v[154:155], v[64:65], v[38:39]
	v_add_f64 v[28:29], v[236:237], -v[130:131]
	v_add_f64 v[30:31], v[144:145], -v[124:125]
	;; [unrolled: 1-line block ×4, first 2 shown]
	v_add_f64 v[44:45], v[142:143], v[138:139]
	v_add_f64 v[46:47], v[136:137], v[132:133]
	v_add_f64 v[64:65], v[138:139], -v[142:143]
	v_add_f64 v[66:67], v[132:133], -v[136:137]
	v_add_f64 v[68:69], v[32:33], v[20:21]
	v_add_f64 v[70:71], v[34:35], v[22:23]
	v_add_f64 v[72:73], v[32:33], -v[20:21]
	v_add_f64 v[74:75], v[34:35], -v[22:23]
	;; [unrolled: 1-line block ×6, first 2 shown]
	v_add_f64 v[78:79], v[64:65], v[36:37]
	v_add_f64 v[120:121], v[66:67], v[38:39]
	v_add_f64 v[124:125], v[64:65], -v[36:37]
	v_add_f64 v[126:127], v[66:67], -v[38:39]
	;; [unrolled: 1-line block ×6, first 2 shown]
	v_add_f64 v[44:45], v[44:45], v[68:69]
	v_add_f64 v[46:47], v[46:47], v[70:71]
	;; [unrolled: 1-line block ×4, first 2 shown]
	v_mul_f64 v[68:69], v[124:125], s[22:23]
	v_mul_f64 v[70:71], v[126:127], s[22:23]
	;; [unrolled: 1-line block ×4, first 2 shown]
	v_add_f64 v[120:121], v[16:17], v[44:45]
	v_add_f64 v[122:123], v[18:19], v[46:47]
	v_mul_f64 v[16:17], v[20:21], s[26:27]
	v_mul_f64 v[18:19], v[22:23], s[26:27]
	;; [unrolled: 1-line block ×4, first 2 shown]
	v_fma_f64 v[36:37], v[36:37], s[4:5], -v[68:69]
	v_fma_f64 v[38:39], v[38:39], s[4:5], -v[70:71]
	v_fma_f64 v[44:45], v[44:45], s[20:21], v[120:121]
	v_fma_f64 v[46:47], v[46:47], s[20:21], v[122:123]
	;; [unrolled: 1-line block ×4, first 2 shown]
	v_fma_f64 v[20:21], v[72:73], s[14:15], -v[20:21]
	v_fma_f64 v[22:23], v[74:75], s[14:15], -v[22:23]
	;; [unrolled: 1-line block ×4, first 2 shown]
	v_fma_f64 v[72:73], v[64:65], s[18:19], v[68:69]
	v_fma_f64 v[74:75], v[66:67], s[18:19], v[70:71]
	;; [unrolled: 1-line block ×6, first 2 shown]
	v_add_f64 v[32:33], v[32:33], v[44:45]
	v_add_f64 v[34:35], v[34:35], v[46:47]
	;; [unrolled: 1-line block ×6, first 2 shown]
	v_fma_f64 v[44:45], v[28:29], s[2:3], v[72:73]
	v_fma_f64 v[46:47], v[30:31], s[2:3], v[74:75]
	;; [unrolled: 1-line block ×4, first 2 shown]
	v_add_f64 v[136:137], v[20:21], -v[38:39]
	v_add_f64 v[132:133], v[38:39], v[20:21]
	v_add_f64 v[20:21], v[116:117], v[104:105]
	;; [unrolled: 1-line block ×3, first 2 shown]
	v_add_f64 v[146:147], v[34:35], -v[44:45]
	v_add_f64 v[144:145], v[46:47], v[32:33]
	v_add_f64 v[142:143], v[18:19], -v[28:29]
	v_add_f64 v[140:141], v[30:31], v[16:17]
	;; [unrolled: 2-line block ×3, first 2 shown]
	v_add_f64 v[16:17], v[6:7], v[106:107]
	v_add_f64 v[18:19], v[2:3], v[0:1]
	v_add_f64 v[0:1], v[2:3], -v[0:1]
	v_add_f64 v[2:3], v[210:211], v[110:111]
	v_add_f64 v[134:135], v[22:23], -v[36:37]
	v_add_f64 v[124:125], v[32:33], -v[46:47]
	v_add_f64 v[126:127], v[44:45], v[34:35]
	v_add_f64 v[6:7], v[6:7], -v[106:107]
	v_add_f64 v[22:23], v[210:211], -v[110:111]
	;; [unrolled: 1-line block ×3, first 2 shown]
	v_add_f64 v[30:31], v[118:119], v[114:115]
	v_add_f64 v[32:33], v[112:113], v[108:109]
	v_add_f64 v[34:35], v[114:115], -v[118:119]
	v_add_f64 v[36:37], v[108:109], -v[112:113]
	v_add_f64 v[44:45], v[20:21], v[18:19]
	v_add_f64 v[64:65], v[20:21], -v[18:19]
	v_add_f64 v[38:39], v[2:3], v[16:17]
	v_add_f64 v[46:47], v[2:3], -v[16:17]
	v_add_f64 v[16:17], v[16:17], -v[30:31]
	v_add_f64 v[18:19], v[18:19], -v[32:33]
	v_add_f64 v[2:3], v[30:31], -v[2:3]
	v_add_f64 v[20:21], v[32:33], -v[20:21]
	v_add_f64 v[66:67], v[34:35], v[22:23]
	v_add_f64 v[68:69], v[36:37], v[28:29]
	v_add_f64 v[70:71], v[34:35], -v[22:23]
	v_add_f64 v[72:73], v[36:37], -v[28:29]
	;; [unrolled: 1-line block ×6, first 2 shown]
	v_add_f64 v[30:31], v[30:31], v[38:39]
	v_add_f64 v[38:39], v[32:33], v[44:45]
	;; [unrolled: 1-line block ×4, first 2 shown]
	v_mul_f64 v[44:45], v[70:71], s[22:23]
	v_mul_f64 v[66:67], v[72:73], s[22:23]
	;; [unrolled: 1-line block ×4, first 2 shown]
	v_add_f64 v[32:33], v[12:13], v[30:31]
	v_add_f64 v[34:35], v[14:15], v[38:39]
	v_mul_f64 v[12:13], v[16:17], s[26:27]
	v_mul_f64 v[14:15], v[18:19], s[26:27]
	;; [unrolled: 1-line block ×4, first 2 shown]
	v_fma_f64 v[22:23], v[22:23], s[4:5], -v[44:45]
	v_fma_f64 v[28:29], v[28:29], s[4:5], -v[66:67]
	v_fma_f64 v[30:31], v[30:31], s[20:21], v[32:33]
	v_fma_f64 v[38:39], v[38:39], s[20:21], v[34:35]
	;; [unrolled: 1-line block ×4, first 2 shown]
	v_fma_f64 v[16:17], v[46:47], s[14:15], -v[16:17]
	v_fma_f64 v[18:19], v[64:65], s[14:15], -v[18:19]
	;; [unrolled: 1-line block ×4, first 2 shown]
	v_fma_f64 v[46:47], v[74:75], s[18:19], v[44:45]
	v_fma_f64 v[64:65], v[36:37], s[18:19], v[66:67]
	;; [unrolled: 1-line block ×6, first 2 shown]
	v_add_f64 v[2:3], v[2:3], v[30:31]
	v_add_f64 v[66:67], v[20:21], v[38:39]
	;; [unrolled: 1-line block ×6, first 2 shown]
	v_fma_f64 v[30:31], v[6:7], s[2:3], v[46:47]
	v_fma_f64 v[20:21], v[0:1], s[2:3], v[64:65]
	;; [unrolled: 1-line block ×4, first 2 shown]
	v_add_f64 v[36:37], v[92:93], v[88:89]
	v_add_f64 v[38:39], v[102:103], v[84:85]
	v_add_f64 v[44:45], v[88:89], -v[92:93]
	v_add_f64 v[46:47], v[84:85], -v[102:103]
	;; [unrolled: 1-line block ×3, first 2 shown]
	v_add_f64 v[110:111], v[22:23], v[18:19]
	v_add_f64 v[104:105], v[28:29], v[16:17]
	v_add_f64 v[106:107], v[18:19], -v[22:23]
	v_add_f64 v[118:119], v[66:67], -v[30:31]
	v_add_f64 v[116:117], v[20:21], v[2:3]
	v_add_f64 v[114:115], v[14:15], -v[6:7]
	v_add_f64 v[112:113], v[0:1], v[12:13]
	;; [unrolled: 2-line block ×4, first 2 shown]
	v_add_f64 v[2:3], v[202:203], v[76:77]
	v_add_f64 v[12:13], v[96:97], v[86:87]
	;; [unrolled: 1-line block ×4, first 2 shown]
	v_add_f64 v[4:5], v[100:101], -v[4:5]
	v_add_f64 v[6:7], v[202:203], -v[76:77]
	;; [unrolled: 1-line block ×4, first 2 shown]
	v_add_f64 v[64:65], v[12:13], v[0:1]
	v_add_f64 v[66:67], v[14:15], v[2:3]
	v_add_f64 v[68:69], v[12:13], -v[0:1]
	v_add_f64 v[70:71], v[14:15], -v[2:3]
	;; [unrolled: 1-line block ×6, first 2 shown]
	v_add_f64 v[12:13], v[44:45], v[28:29]
	v_add_f64 v[14:15], v[46:47], v[30:31]
	v_add_f64 v[76:77], v[44:45], -v[28:29]
	v_add_f64 v[78:79], v[46:47], -v[30:31]
	;; [unrolled: 1-line block ×6, first 2 shown]
	v_add_f64 v[36:37], v[36:37], v[64:65]
	v_add_f64 v[38:39], v[38:39], v[66:67]
	v_mul_f64 v[0:1], v[0:1], s[26:27]
	v_mul_f64 v[2:3], v[2:3], s[26:27]
	v_add_f64 v[4:5], v[12:13], v[4:5]
	v_add_f64 v[6:7], v[14:15], v[6:7]
	v_mul_f64 v[64:65], v[76:77], s[22:23]
	v_mul_f64 v[66:67], v[78:79], s[22:23]
	;; [unrolled: 1-line block ×4, first 2 shown]
	v_add_f64 v[12:13], v[8:9], v[36:37]
	v_add_f64 v[14:15], v[10:11], v[38:39]
	v_mul_f64 v[8:9], v[72:73], s[6:7]
	v_mul_f64 v[10:11], v[74:75], s[6:7]
	v_fma_f64 v[72:73], v[72:73], s[6:7], v[0:1]
	v_fma_f64 v[74:75], v[74:75], s[6:7], v[2:3]
	v_fma_f64 v[0:1], v[68:69], s[16:17], -v[0:1]
	v_fma_f64 v[2:3], v[70:71], s[16:17], -v[2:3]
	v_fma_f64 v[28:29], v[28:29], s[4:5], -v[64:65]
	v_fma_f64 v[30:31], v[30:31], s[4:5], -v[66:67]
	v_fma_f64 v[36:37], v[36:37], s[20:21], v[12:13]
	v_fma_f64 v[38:39], v[38:39], s[20:21], v[14:15]
	v_fma_f64 v[8:9], v[68:69], s[14:15], -v[8:9]
	v_fma_f64 v[10:11], v[70:71], s[14:15], -v[10:11]
	v_fma_f64 v[68:69], v[44:45], s[18:19], v[64:65]
	v_fma_f64 v[70:71], v[46:47], s[18:19], v[66:67]
	;; [unrolled: 1-line block ×6, first 2 shown]
	v_add_f64 v[88:89], v[72:73], v[36:37]
	v_add_f64 v[92:93], v[74:75], v[38:39]
	;; [unrolled: 1-line block ×6, first 2 shown]
	v_fma_f64 v[36:37], v[4:5], s[2:3], v[68:69]
	v_fma_f64 v[38:39], v[6:7], s[2:3], v[70:71]
	;; [unrolled: 1-line block ×4, first 2 shown]
	v_add_f64 v[44:45], v[248:249], v[252:253]
	v_add_f64 v[46:47], v[250:251], v[254:255]
	v_add_f64 v[72:73], v[8:9], -v[30:31]
	v_add_f64 v[74:75], v[28:29], v[10:11]
	v_add_f64 v[68:69], v[30:31], v[8:9]
	v_add_f64 v[70:71], v[10:11], -v[28:29]
	;; [unrolled: 3-line block ×3, first 2 shown]
	v_add_f64 v[76:77], v[6:7], v[0:1]
	v_add_f64 v[64:65], v[0:1], -v[6:7]
	v_add_f64 v[66:67], v[4:5], v[2:3]
	v_add_f64 v[0:1], v[90:91], v[56:57]
	;; [unrolled: 1-line block ×4, first 2 shown]
	v_add_f64 v[86:87], v[92:93], -v[36:37]
	v_add_f64 v[8:9], v[88:89], -v[38:39]
	v_add_f64 v[10:11], v[36:37], v[92:93]
	v_add_f64 v[4:5], v[90:91], -v[56:57]
	v_add_f64 v[6:7], v[238:239], -v[54:55]
	;; [unrolled: 1-line block ×8, first 2 shown]
	v_add_f64 v[60:61], v[28:29], v[0:1]
	v_add_f64 v[88:89], v[30:31], v[2:3]
	v_add_f64 v[90:91], v[28:29], -v[0:1]
	v_add_f64 v[92:93], v[30:31], -v[2:3]
	;; [unrolled: 1-line block ×4, first 2 shown]
	v_add_f64 v[28:29], v[54:55], v[36:37]
	v_add_f64 v[30:31], v[56:57], v[38:39]
	v_add_f64 v[100:101], v[54:55], -v[36:37]
	v_add_f64 v[102:103], v[56:57], -v[38:39]
	v_add_f64 v[36:37], v[36:37], -v[4:5]
	v_add_f64 v[38:39], v[38:39], -v[6:7]
	v_add_f64 v[54:55], v[4:5], -v[54:55]
	v_add_f64 v[56:57], v[6:7], -v[56:57]
	v_add_f64 v[44:45], v[44:45], v[60:61]
	v_add_f64 v[46:47], v[46:47], v[88:89]
	v_mul_f64 v[60:61], v[96:97], s[6:7]
	v_mul_f64 v[88:89], v[98:99], s[6:7]
	;; [unrolled: 1-line block ×4, first 2 shown]
	v_add_f64 v[4:5], v[28:29], v[4:5]
	v_add_f64 v[6:7], v[30:31], v[6:7]
	v_mul_f64 v[100:101], v[100:101], s[22:23]
	v_mul_f64 v[102:103], v[102:103], s[22:23]
	;; [unrolled: 1-line block ×4, first 2 shown]
	v_add_f64 v[28:29], v[206:207], v[44:45]
	v_add_f64 v[30:31], v[208:209], v[46:47]
	v_fma_f64 v[60:61], v[90:91], s[14:15], -v[60:61]
	v_fma_f64 v[88:89], v[92:93], s[14:15], -v[88:89]
	v_fma_f64 v[96:97], v[96:97], s[6:7], v[0:1]
	v_fma_f64 v[98:99], v[98:99], s[6:7], v[2:3]
	v_fma_f64 v[0:1], v[90:91], s[16:17], -v[0:1]
	v_fma_f64 v[2:3], v[92:93], s[16:17], -v[2:3]
	v_fma_f64 v[90:91], v[54:55], s[18:19], v[100:101]
	v_fma_f64 v[92:93], v[56:57], s[18:19], v[102:103]
	;; [unrolled: 4-line block ×3, first 2 shown]
	v_fma_f64 v[44:45], v[44:45], s[20:21], v[28:29]
	v_fma_f64 v[46:47], v[46:47], s[20:21], v[30:31]
	;; [unrolled: 1-line block ×8, first 2 shown]
	v_add_f64 v[54:55], v[62:63], -v[214:215]
	v_add_f64 v[56:57], v[58:59], v[40:41]
	v_add_f64 v[40:41], v[40:41], -v[58:59]
	v_add_f64 v[60:61], v[60:61], v[44:45]
	v_add_f64 v[88:89], v[88:89], v[46:47]
	;; [unrolled: 1-line block ×6, first 2 shown]
	v_add_f64 v[44:45], v[60:61], -v[38:39]
	v_add_f64 v[46:47], v[36:37], v[88:89]
	v_add_f64 v[236:237], v[6:7], v[0:1]
	v_add_f64 v[238:239], v[2:3], -v[4:5]
	v_add_f64 v[96:97], v[38:39], v[60:61]
	v_add_f64 v[98:99], v[88:89], -v[36:37]
	v_add_f64 v[36:37], v[0:1], -v[6:7]
	v_add_f64 v[38:39], v[4:5], v[2:3]
	v_add_f64 v[0:1], v[52:53], v[232:233]
	;; [unrolled: 1-line block ×3, first 2 shown]
	v_add_f64 v[4:5], v[52:53], -v[232:233]
	v_add_f64 v[6:7], v[48:49], -v[234:235]
	v_add_f64 v[48:49], v[50:51], v[212:213]
	v_add_f64 v[52:53], v[62:63], v[214:215]
	v_add_f64 v[50:51], v[50:51], -v[212:213]
	v_add_f64 v[60:61], v[42:43], v[94:95]
	v_add_f64 v[42:43], v[94:95], -v[42:43]
	;; [unrolled: 2-line block ×3, first 2 shown]
	v_add_f64 v[88:89], v[100:101], -v[92:93]
	v_add_f64 v[90:91], v[90:91], v[102:103]
	v_add_f64 v[100:101], v[0:1], -v[56:57]
	v_add_f64 v[58:59], v[48:49], v[0:1]
	v_add_f64 v[62:63], v[52:53], v[2:3]
	v_add_f64 v[92:93], v[48:49], -v[0:1]
	v_add_f64 v[94:95], v[52:53], -v[2:3]
	;; [unrolled: 1-line block ×5, first 2 shown]
	v_add_f64 v[0:1], v[40:41], v[50:51]
	v_add_f64 v[2:3], v[42:43], v[54:55]
	v_add_f64 v[197:198], v[40:41], -v[50:51]
	v_add_f64 v[199:200], v[42:43], -v[54:55]
	;; [unrolled: 1-line block ×6, first 2 shown]
	v_add_f64 v[56:57], v[56:57], v[58:59]
	v_add_f64 v[58:59], v[60:61], v[62:63]
	v_mul_f64 v[60:61], v[100:101], s[26:27]
	v_mul_f64 v[62:63], v[102:103], s[26:27]
	;; [unrolled: 1-line block ×4, first 2 shown]
	v_add_f64 v[4:5], v[0:1], v[4:5]
	v_add_f64 v[6:7], v[2:3], v[6:7]
	v_mul_f64 v[197:198], v[197:198], s[22:23]
	v_mul_f64 v[199:200], v[199:200], s[22:23]
	;; [unrolled: 1-line block ×4, first 2 shown]
	v_add_f64 v[0:1], v[216:217], v[56:57]
	v_add_f64 v[2:3], v[218:219], v[58:59]
	v_fma_f64 v[48:49], v[48:49], s[6:7], v[60:61]
	v_fma_f64 v[60:61], v[92:93], s[16:17], -v[60:61]
	v_fma_f64 v[52:53], v[52:53], s[6:7], v[62:63]
	v_fma_f64 v[100:101], v[92:93], s[14:15], -v[100:101]
	v_fma_f64 v[102:103], v[94:95], s[14:15], -v[102:103]
	;; [unrolled: 1-line block ×3, first 2 shown]
	v_fma_f64 v[92:93], v[40:41], s[18:19], v[197:198]
	v_fma_f64 v[94:95], v[42:43], s[18:19], v[199:200]
	v_fma_f64 v[54:55], v[54:55], s[4:5], -v[199:200]
	v_fma_f64 v[42:43], v[42:43], s[8:9], v[203:204]
	v_fma_f64 v[50:51], v[50:51], s[4:5], -v[197:198]
	v_fma_f64 v[40:41], v[40:41], s[8:9], v[201:202]
	v_fma_f64 v[56:57], v[56:57], s[20:21], v[0:1]
	;; [unrolled: 1-line block ×7, first 2 shown]
	v_add_f64 v[197:198], v[48:49], v[56:57]
	v_add_f64 v[199:200], v[52:53], v[58:59]
	;; [unrolled: 1-line block ×5, first 2 shown]
	v_fma_f64 v[52:53], v[6:7], s[2:3], v[54:55]
	v_fma_f64 v[6:7], v[6:7], s[2:3], v[42:43]
	v_add_f64 v[201:202], v[62:63], v[58:59]
	v_add_f64 v[60:61], v[94:95], v[197:198]
	v_add_f64 v[62:63], v[199:200], -v[92:93]
	v_add_f64 v[58:59], v[50:51], v[100:101]
	v_add_f64 v[54:55], v[100:101], -v[50:51]
	v_add_f64 v[56:57], v[48:49], -v[52:53]
	v_add_f64 v[40:41], v[6:7], v[102:103]
	v_add_f64 v[52:53], v[52:53], v[48:49]
	v_add_f64 v[48:49], v[102:103], -v[6:7]
	v_add_f64 v[6:7], v[92:93], v[199:200]
	buffer_load_dword v92, off, s[36:39], 0 offset:2768 ; 4-byte Folded Reload
	s_waitcnt vmcnt(0)
	ds_write_b128 v92, v[148:151]
	ds_write_b128 v92, v[168:171] offset:112
	ds_write_b128 v92, v[24:27] offset:224
	ds_write_b128 v92, v[180:183] offset:336
	ds_write_b128 v92, v[184:187] offset:448
	ds_write_b128 v92, v[188:191] offset:560
	ds_write_b128 v92, v[192:195] offset:672
	buffer_load_dword v24, off, s[36:39], 0 offset:2760 ; 4-byte Folded Reload
	s_waitcnt vmcnt(0)
	ds_write_b128 v24, v[80:83]
	ds_write_b128 v24, v[176:179] offset:112
	ds_write_b128 v24, v[172:175] offset:224
	ds_write_b128 v24, v[164:167] offset:336
	ds_write_b128 v24, v[160:163] offset:448
	ds_write_b128 v24, v[156:159] offset:560
	ds_write_b128 v24, v[152:155] offset:672
	buffer_load_dword v24, off, s[36:39], 0 offset:2752 ; 4-byte Folded Reload
	s_waitcnt vmcnt(0)
	ds_write_b128 v24, v[120:123]
	ds_write_b128 v24, v[144:147] offset:112
	ds_write_b128 v24, v[140:143] offset:224
	ds_write_b128 v24, v[136:139] offset:336
	ds_write_b128 v24, v[132:135] offset:448
	ds_write_b128 v24, v[128:131] offset:560
	ds_write_b128 v24, v[124:127] offset:672
	buffer_load_dword v24, off, s[36:39], 0 offset:2624 ; 4-byte Folded Reload
	s_waitcnt vmcnt(0)
	ds_write_b128 v24, v[32:35]
	ds_write_b128 v24, v[116:119] offset:112
	ds_write_b128 v24, v[112:115] offset:224
	ds_write_b128 v24, v[108:111] offset:336
	ds_write_b128 v24, v[104:107] offset:448
	ds_write_b128 v24, v[16:19] offset:560
	ds_write_b128 v24, v[20:23] offset:672
	buffer_load_dword v16, off, s[36:39], 0 offset:2244 ; 4-byte Folded Reload
	s_waitcnt vmcnt(0)
	ds_write_b128 v16, v[12:15]
	ds_write_b128 v16, v[84:87] offset:112
	ds_write_b128 v16, v[76:79] offset:224
	ds_write_b128 v16, v[72:75] offset:336
	ds_write_b128 v16, v[68:71] offset:448
	ds_write_b128 v16, v[64:67] offset:560
	ds_write_b128 v16, v[8:11] offset:672
	buffer_load_dword v8, off, s[36:39], 0 offset:1608 ; 4-byte Folded Reload
	s_waitcnt vmcnt(0)
	ds_write_b128 v8, v[28:31]
	ds_write_b128 v8, v[244:247] offset:112
	ds_write_b128 v8, v[236:239] offset:224
	ds_write_b128 v8, v[44:47] offset:336
	ds_write_b128 v8, v[96:99] offset:448
	ds_write_b128 v8, v[36:39] offset:560
	ds_write_b128 v8, v[88:91] offset:672
	buffer_load_dword v8, off, s[36:39], 0 offset:940 ; 4-byte Folded Reload
	v_add_f64 v[42:43], v[201:202], -v[4:5]
	v_add_f64 v[50:51], v[4:5], v[201:202]
	v_add_f64 v[4:5], v[197:198], -v[94:95]
	s_waitcnt vmcnt(0)
	ds_write_b128 v8, v[0:3]
	ds_write_b128 v8, v[60:63] offset:112
	ds_write_b128 v8, v[40:43] offset:224
	;; [unrolled: 1-line block ×6, first 2 shown]
	s_waitcnt lgkmcnt(0)
	s_barrier
	buffer_gl0_inv
	ds_read_b128 v[0:3], v196
	ds_read_b128 v[192:195], v196 offset:5488
	ds_read_b128 v[188:191], v196 offset:10976
	;; [unrolled: 1-line block ×48, first 2 shown]
	s_waitcnt lgkmcnt(47)
	v_mul_f64 v[197:198], v[242:243], v[194:195]
	v_fma_f64 v[232:233], v[240:241], v[192:193], v[197:198]
	v_mul_f64 v[192:193], v[242:243], v[192:193]
	v_fma_f64 v[234:235], v[240:241], v[194:195], -v[192:193]
	s_waitcnt lgkmcnt(46)
	v_mul_f64 v[192:193], v[226:227], v[190:191]
	v_fma_f64 v[236:237], v[224:225], v[188:189], v[192:193]
	v_mul_f64 v[188:189], v[226:227], v[188:189]
	v_fma_f64 v[238:239], v[224:225], v[190:191], -v[188:189]
	s_clause 0x3
	buffer_load_dword v190, off, s[36:39], 0 offset:1272
	buffer_load_dword v191, off, s[36:39], 0 offset:1276
	;; [unrolled: 1-line block ×4, first 2 shown]
	s_waitcnt vmcnt(0) lgkmcnt(45)
	v_mul_f64 v[188:189], v[192:193], v[186:187]
	v_fma_f64 v[244:245], v[190:191], v[184:185], v[188:189]
	v_mul_f64 v[184:185], v[192:193], v[184:185]
	v_fma_f64 v[246:247], v[190:191], v[186:187], -v[184:185]
	s_clause 0x3
	buffer_load_dword v186, off, s[36:39], 0 offset:1304
	buffer_load_dword v187, off, s[36:39], 0 offset:1308
	;; [unrolled: 1-line block ×4, first 2 shown]
	s_waitcnt vmcnt(0) lgkmcnt(44)
	v_mul_f64 v[184:185], v[188:189], v[182:183]
	v_mov_b32_e32 v202, v189
	v_mov_b32_e32 v201, v188
	;; [unrolled: 1-line block ×4, first 2 shown]
	v_fma_f64 v[248:249], v[186:187], v[180:181], v[184:185]
	v_mul_f64 v[180:181], v[188:189], v[180:181]
	v_fma_f64 v[250:251], v[186:187], v[182:183], -v[180:181]
	s_waitcnt lgkmcnt(43)
	v_mul_f64 v[180:181], v[230:231], v[178:179]
	v_fma_f64 v[252:253], v[228:229], v[176:177], v[180:181]
	v_mul_f64 v[176:177], v[230:231], v[176:177]
	v_fma_f64 v[254:255], v[228:229], v[178:179], -v[176:177]
	s_clause 0x3
	buffer_load_dword v178, off, s[36:39], 0 offset:1320
	buffer_load_dword v179, off, s[36:39], 0 offset:1324
	;; [unrolled: 1-line block ×4, first 2 shown]
	s_waitcnt vmcnt(0) lgkmcnt(42)
	v_mul_f64 v[176:177], v[180:181], v[174:175]
	v_fma_f64 v[222:223], v[178:179], v[172:173], v[176:177]
	v_mul_f64 v[172:173], v[180:181], v[172:173]
	v_fma_f64 v[197:198], v[178:179], v[174:175], -v[172:173]
	s_waitcnt lgkmcnt(40)
	v_mul_f64 v[172:173], v[242:243], v[170:171]
	v_mov_b32_e32 v174, v178
	v_mov_b32_e32 v175, v179
	;; [unrolled: 1-line block ×4, first 2 shown]
	v_fma_f64 v[180:181], v[240:241], v[168:169], v[172:173]
	v_mul_f64 v[168:169], v[242:243], v[168:169]
	v_fma_f64 v[182:183], v[240:241], v[170:171], -v[168:169]
	s_waitcnt lgkmcnt(39)
	v_mul_f64 v[168:169], v[226:227], v[166:167]
	v_fma_f64 v[184:185], v[224:225], v[164:165], v[168:169]
	v_mul_f64 v[164:165], v[226:227], v[164:165]
	v_fma_f64 v[186:187], v[224:225], v[166:167], -v[164:165]
	s_waitcnt lgkmcnt(38)
	v_mul_f64 v[164:165], v[192:193], v[162:163]
	;; [unrolled: 5-line block ×5, first 2 shown]
	v_fma_f64 v[224:225], v[174:175], v[148:149], v[152:153]
	v_mul_f64 v[148:149], v[176:177], v[148:149]
	v_fma_f64 v[220:221], v[174:175], v[150:151], -v[148:149]
	s_clause 0x3
	buffer_load_dword v150, off, s[36:39], 0 offset:908
	buffer_load_dword v151, off, s[36:39], 0 offset:912
	buffer_load_dword v152, off, s[36:39], 0 offset:916
	buffer_load_dword v153, off, s[36:39], 0 offset:920
	s_waitcnt vmcnt(0) lgkmcnt(33)
	v_mul_f64 v[148:149], v[152:153], v[146:147]
	v_fma_f64 v[168:169], v[150:151], v[144:145], v[148:149]
	v_mul_f64 v[144:145], v[152:153], v[144:145]
	v_fma_f64 v[170:171], v[150:151], v[146:147], -v[144:145]
	s_clause 0x3
	buffer_load_dword v146, off, s[36:39], 0 offset:956
	buffer_load_dword v147, off, s[36:39], 0 offset:960
	buffer_load_dword v148, off, s[36:39], 0 offset:964
	buffer_load_dword v149, off, s[36:39], 0 offset:968
	s_waitcnt vmcnt(0) lgkmcnt(32)
	v_mul_f64 v[144:145], v[148:149], v[142:143]
	;; [unrolled: 10-line block ×3, first 2 shown]
	v_fma_f64 v[140:141], v[142:143], v[136:137], v[140:141]
	v_mul_f64 v[136:137], v[144:145], v[136:137]
	s_clause 0x3
	buffer_load_dword v144, off, s[36:39], 0 offset:1020
	buffer_load_dword v145, off, s[36:39], 0 offset:1024
	;; [unrolled: 1-line block ×4, first 2 shown]
	v_fma_f64 v[142:143], v[142:143], v[138:139], -v[136:137]
	s_waitcnt vmcnt(0) lgkmcnt(30)
	v_mul_f64 v[136:137], v[146:147], v[134:135]
	v_fma_f64 v[164:165], v[144:145], v[132:133], v[136:137]
	v_mul_f64 v[132:133], v[146:147], v[132:133]
	v_fma_f64 v[166:167], v[144:145], v[134:135], -v[132:133]
	s_clause 0x3
	buffer_load_dword v134, off, s[36:39], 0 offset:1052
	buffer_load_dword v135, off, s[36:39], 0 offset:1056
	buffer_load_dword v136, off, s[36:39], 0 offset:1060
	buffer_load_dword v137, off, s[36:39], 0 offset:1064
	s_waitcnt vmcnt(0) lgkmcnt(29)
	v_mul_f64 v[132:133], v[136:137], v[130:131]
	v_fma_f64 v[172:173], v[134:135], v[128:129], v[132:133]
	v_mul_f64 v[128:129], v[136:137], v[128:129]
	v_fma_f64 v[174:175], v[134:135], v[130:131], -v[128:129]
	s_clause 0x3
	buffer_load_dword v130, off, s[36:39], 0 offset:1068
	buffer_load_dword v131, off, s[36:39], 0 offset:1072
	buffer_load_dword v132, off, s[36:39], 0 offset:1076
	buffer_load_dword v133, off, s[36:39], 0 offset:1080
	;; [unrolled: 10-line block ×9, first 2 shown]
	v_add_f64 v[106:107], v[194:195], -v[190:191]
	s_waitcnt vmcnt(0) lgkmcnt(19)
	v_mul_f64 v[100:101], v[104:105], v[98:99]
	v_fma_f64 v[112:113], v[102:103], v[96:97], v[100:101]
	v_mul_f64 v[96:97], v[104:105], v[96:97]
	v_add_f64 v[104:105], v[192:193], -v[188:189]
	v_fma_f64 v[114:115], v[102:103], v[98:99], -v[96:97]
	s_clause 0x3
	buffer_load_dword v98, off, s[36:39], 0 offset:1384
	buffer_load_dword v99, off, s[36:39], 0 offset:1388
	;; [unrolled: 1-line block ×4, first 2 shown]
	v_add_f64 v[102:103], v[190:191], v[194:195]
	s_waitcnt vmcnt(0) lgkmcnt(18)
	v_mul_f64 v[96:97], v[100:101], v[94:95]
	v_fma_f64 v[116:117], v[98:99], v[92:93], v[96:97]
	v_mul_f64 v[92:93], v[100:101], v[92:93]
	v_add_f64 v[100:101], v[188:189], v[192:193]
	v_fma_f64 v[118:119], v[98:99], v[94:95], -v[92:93]
	s_clause 0x3
	buffer_load_dword v94, off, s[36:39], 0 offset:1400
	buffer_load_dword v95, off, s[36:39], 0 offset:1404
	buffer_load_dword v96, off, s[36:39], 0 offset:1408
	buffer_load_dword v97, off, s[36:39], 0 offset:1412
	s_waitcnt vmcnt(0) lgkmcnt(17)
	v_mul_f64 v[92:93], v[96:97], v[90:91]
	v_fma_f64 v[120:121], v[94:95], v[88:89], v[92:93]
	v_mul_f64 v[88:89], v[96:97], v[88:89]
	v_fma_f64 v[122:123], v[94:95], v[90:91], -v[88:89]
	s_clause 0x3
	buffer_load_dword v90, off, s[36:39], 0 offset:1416
	buffer_load_dword v91, off, s[36:39], 0 offset:1420
	buffer_load_dword v92, off, s[36:39], 0 offset:1424
	buffer_load_dword v93, off, s[36:39], 0 offset:1428
	s_waitcnt vmcnt(0) lgkmcnt(16)
	v_mul_f64 v[88:89], v[92:93], v[86:87]
	v_fma_f64 v[124:125], v[90:91], v[84:85], v[88:89]
	v_mul_f64 v[84:85], v[92:93], v[84:85]
	;; [unrolled: 10-line block ×8, first 2 shown]
	v_fma_f64 v[60:61], v[78:79], v[62:63], -v[60:61]
	s_clause 0x7
	buffer_load_dword v78, off, s[36:39], 0 offset:1756
	buffer_load_dword v79, off, s[36:39], 0 offset:1760
	;; [unrolled: 1-line block ×8, first 2 shown]
	s_waitcnt vmcnt(4) lgkmcnt(8)
	v_mul_f64 v[62:63], v[80:81], v[58:59]
	v_fma_f64 v[62:63], v[78:79], v[56:57], v[62:63]
	v_mul_f64 v[56:57], v[80:81], v[56:57]
	v_fma_f64 v[78:79], v[78:79], v[58:59], -v[56:57]
	s_waitcnt vmcnt(0) lgkmcnt(7)
	v_mul_f64 v[56:57], v[90:91], v[54:55]
	v_fma_f64 v[80:81], v[88:89], v[52:53], v[56:57]
	v_mul_f64 v[52:53], v[90:91], v[52:53]
	v_fma_f64 v[82:83], v[88:89], v[54:55], -v[52:53]
	s_clause 0x3
	buffer_load_dword v54, off, s[36:39], 0 offset:1956
	buffer_load_dword v55, off, s[36:39], 0 offset:1960
	;; [unrolled: 1-line block ×4, first 2 shown]
	s_waitcnt vmcnt(0) lgkmcnt(5)
	v_mul_f64 v[52:53], v[56:57], v[38:39]
	v_fma_f64 v[52:53], v[54:55], v[36:37], v[52:53]
	v_mul_f64 v[36:37], v[56:57], v[36:37]
	s_clause 0x3
	buffer_load_dword v56, off, s[36:39], 0 offset:1972
	buffer_load_dword v57, off, s[36:39], 0 offset:1976
	;; [unrolled: 1-line block ×4, first 2 shown]
	v_fma_f64 v[54:55], v[54:55], v[38:39], -v[36:37]
	v_add_f64 v[38:39], v[250:251], -v[246:247]
	s_waitcnt vmcnt(0) lgkmcnt(4)
	v_mul_f64 v[36:37], v[58:59], v[34:35]
	v_fma_f64 v[226:227], v[56:57], v[32:33], v[36:37]
	v_mul_f64 v[32:33], v[58:59], v[32:33]
	v_fma_f64 v[228:229], v[56:57], v[34:35], -v[32:33]
	s_clause 0x3
	buffer_load_dword v34, off, s[36:39], 0 offset:1988
	buffer_load_dword v35, off, s[36:39], 0 offset:1992
	;; [unrolled: 1-line block ×4, first 2 shown]
	s_waitcnt vmcnt(0) lgkmcnt(3)
	v_mul_f64 v[32:33], v[36:37], v[26:27]
	v_fma_f64 v[200:201], v[34:35], v[24:25], v[32:33]
	v_mul_f64 v[24:25], v[36:37], v[24:25]
	v_add_f64 v[36:37], v[248:249], -v[244:245]
	v_fma_f64 v[202:203], v[34:35], v[26:27], -v[24:25]
	s_clause 0x3
	buffer_load_dword v32, off, s[36:39], 0 offset:2004
	buffer_load_dword v33, off, s[36:39], 0 offset:2008
	;; [unrolled: 1-line block ×4, first 2 shown]
	v_add_f64 v[26:27], v[238:239], -v[254:255]
	v_add_f64 v[94:95], v[38:39], v[26:27]
	v_add_f64 v[98:99], v[38:39], -v[26:27]
	s_waitcnt vmcnt(0) lgkmcnt(2)
	v_mul_f64 v[24:25], v[34:35], v[22:23]
	v_fma_f64 v[204:205], v[32:33], v[20:21], v[24:25]
	v_mul_f64 v[20:21], v[34:35], v[20:21]
	v_add_f64 v[34:35], v[246:247], v[250:251]
	v_fma_f64 v[206:207], v[32:33], v[22:23], -v[20:21]
	s_clause 0x3
	buffer_load_dword v22, off, s[36:39], 0 offset:2036
	buffer_load_dword v23, off, s[36:39], 0 offset:2040
	;; [unrolled: 1-line block ×4, first 2 shown]
	v_add_f64 v[32:33], v[244:245], v[248:249]
	s_waitcnt vmcnt(0) lgkmcnt(1)
	v_mul_f64 v[20:21], v[24:25], v[18:19]
	v_fma_f64 v[208:209], v[22:23], v[16:17], v[20:21]
	v_mul_f64 v[16:17], v[24:25], v[16:17]
	v_add_f64 v[24:25], v[236:237], -v[252:253]
	v_fma_f64 v[210:211], v[22:23], v[18:19], -v[16:17]
	s_clause 0x3
	buffer_load_dword v18, off, s[36:39], 0 offset:2052
	buffer_load_dword v19, off, s[36:39], 0 offset:2056
	;; [unrolled: 1-line block ×4, first 2 shown]
	v_add_f64 v[22:23], v[238:239], v[254:255]
	v_add_f64 v[92:93], v[36:37], v[24:25]
	v_add_f64 v[96:97], v[36:37], -v[24:25]
	s_waitcnt vmcnt(0) lgkmcnt(0)
	s_barrier
	buffer_gl0_inv
	v_mul_f64 v[16:17], v[20:21], v[14:15]
	v_fma_f64 v[212:213], v[18:19], v[12:13], v[16:17]
	v_mul_f64 v[12:13], v[20:21], v[12:13]
	v_add_f64 v[20:21], v[236:237], v[252:253]
	v_add_f64 v[16:17], v[232:233], -v[222:223]
	v_fma_f64 v[214:215], v[18:19], v[14:15], -v[12:13]
	v_add_f64 v[12:13], v[232:233], v[222:223]
	v_add_f64 v[14:15], v[234:235], v[197:198]
	v_add_f64 v[18:19], v[234:235], -v[197:198]
	v_add_f64 v[24:25], v[24:25], -v[16:17]
	;; [unrolled: 1-line block ×3, first 2 shown]
	v_add_f64 v[16:17], v[92:93], v[16:17]
	v_mul_f64 v[92:93], v[96:97], s[22:23]
	v_add_f64 v[56:57], v[20:21], v[12:13]
	v_add_f64 v[58:59], v[22:23], v[14:15]
	v_add_f64 v[88:89], v[20:21], -v[12:13]
	v_add_f64 v[90:91], v[22:23], -v[14:15]
	;; [unrolled: 1-line block ×8, first 2 shown]
	v_add_f64 v[18:19], v[94:95], v[18:19]
	v_mul_f64 v[94:95], v[98:99], s[22:23]
	v_mul_f64 v[96:97], v[24:25], s[24:25]
	v_fma_f64 v[24:25], v[24:25], s[4:5], -v[92:93]
	v_add_f64 v[32:33], v[32:33], v[56:57]
	v_add_f64 v[34:35], v[34:35], v[58:59]
	v_mul_f64 v[12:13], v[12:13], s[26:27]
	v_mul_f64 v[14:15], v[14:15], s[26:27]
	;; [unrolled: 1-line block ×5, first 2 shown]
	v_fma_f64 v[26:27], v[26:27], s[4:5], -v[94:95]
	v_add_f64 v[0:1], v[0:1], v[32:33]
	v_add_f64 v[2:3], v[2:3], v[34:35]
	v_fma_f64 v[20:21], v[20:21], s[6:7], v[12:13]
	v_fma_f64 v[22:23], v[22:23], s[6:7], v[14:15]
	v_fma_f64 v[56:57], v[88:89], s[14:15], -v[56:57]
	v_fma_f64 v[58:59], v[90:91], s[14:15], -v[58:59]
	;; [unrolled: 1-line block ×4, first 2 shown]
	v_fma_f64 v[88:89], v[36:37], s[18:19], v[92:93]
	v_fma_f64 v[90:91], v[38:39], s[18:19], v[94:95]
	;; [unrolled: 1-line block ×6, first 2 shown]
	v_add_f64 v[98:99], v[186:187], -v[218:219]
	v_fma_f64 v[32:33], v[32:33], s[20:21], v[0:1]
	v_fma_f64 v[34:35], v[34:35], s[20:21], v[2:3]
	;; [unrolled: 1-line block ×6, first 2 shown]
	v_add_f64 v[190:191], v[106:107], -v[98:99]
	v_add_f64 v[92:93], v[20:21], v[32:33]
	v_add_f64 v[94:95], v[22:23], v[34:35]
	;; [unrolled: 1-line block ×7, first 2 shown]
	v_add_f64 v[18:19], v[94:95], -v[88:89]
	v_add_f64 v[20:21], v[56:57], -v[24:25]
	v_add_f64 v[22:23], v[96:97], v[58:59]
	v_add_f64 v[12:13], v[38:39], v[32:33]
	v_add_f64 v[14:15], v[34:35], -v[36:37]
	v_add_f64 v[24:25], v[24:25], v[56:57]
	v_add_f64 v[26:27], v[58:59], -v[96:97]
	v_add_f64 v[32:33], v[32:33], -v[38:39]
	v_add_f64 v[34:35], v[36:37], v[34:35]
	v_add_f64 v[36:37], v[92:93], -v[90:91]
	v_add_f64 v[38:39], v[88:89], v[94:95]
	v_add_f64 v[56:57], v[180:181], v[224:225]
	;; [unrolled: 1-line block ×5, first 2 shown]
	v_add_f64 v[96:97], v[184:185], -v[216:217]
	v_add_f64 v[88:89], v[180:181], -v[224:225]
	;; [unrolled: 1-line block ×5, first 2 shown]
	v_add_f64 v[108:109], v[92:93], v[56:57]
	v_add_f64 v[110:111], v[94:95], v[58:59]
	v_add_f64 v[180:181], v[92:93], -v[56:57]
	v_add_f64 v[182:183], v[94:95], -v[58:59]
	;; [unrolled: 1-line block ×4, first 2 shown]
	v_add_f64 v[56:57], v[104:105], v[96:97]
	v_add_f64 v[58:59], v[106:107], v[98:99]
	v_add_f64 v[188:189], v[104:105], -v[96:97]
	v_add_f64 v[96:97], v[96:97], -v[88:89]
	;; [unrolled: 1-line block ×5, first 2 shown]
	v_add_f64 v[100:101], v[100:101], v[108:109]
	v_add_f64 v[102:103], v[102:103], v[110:111]
	v_mul_f64 v[108:109], v[92:93], s[6:7]
	v_mul_f64 v[110:111], v[94:95], s[6:7]
	v_add_f64 v[88:89], v[56:57], v[88:89]
	v_add_f64 v[90:91], v[58:59], v[90:91]
	;; [unrolled: 1-line block ×4, first 2 shown]
	v_mul_f64 v[48:49], v[184:185], s[26:27]
	v_mul_f64 v[50:51], v[186:187], s[26:27]
	;; [unrolled: 1-line block ×6, first 2 shown]
	v_fma_f64 v[108:109], v[180:181], s[14:15], -v[108:109]
	v_fma_f64 v[110:111], v[182:183], s[14:15], -v[110:111]
	v_fma_f64 v[100:101], v[100:101], s[20:21], v[56:57]
	v_fma_f64 v[102:103], v[102:103], s[20:21], v[58:59]
	v_fma_f64 v[92:93], v[92:93], s[6:7], v[48:49]
	v_fma_f64 v[94:95], v[94:95], s[6:7], v[50:51]
	v_fma_f64 v[48:49], v[180:181], s[16:17], -v[48:49]
	v_fma_f64 v[50:51], v[182:183], s[16:17], -v[50:51]
	v_fma_f64 v[180:181], v[104:105], s[18:19], v[184:185]
	v_fma_f64 v[182:183], v[106:107], s[18:19], v[186:187]
	;; [unrolled: 1-line block ×4, first 2 shown]
	v_fma_f64 v[96:97], v[96:97], s[4:5], -v[184:185]
	v_fma_f64 v[98:99], v[98:99], s[4:5], -v[186:187]
	v_add_f64 v[108:109], v[108:109], v[100:101]
	v_add_f64 v[110:111], v[110:111], v[102:103]
	v_add_f64 v[184:185], v[92:93], v[100:101]
	v_add_f64 v[186:187], v[94:95], v[102:103]
	v_add_f64 v[48:49], v[48:49], v[100:101]
	v_add_f64 v[50:51], v[50:51], v[102:103]
	v_fma_f64 v[180:181], v[88:89], s[2:3], v[180:181]
	v_fma_f64 v[182:183], v[90:91], s[2:3], v[182:183]
	;; [unrolled: 1-line block ×6, first 2 shown]
	v_add_f64 v[94:95], v[186:187], -v[180:181]
	v_add_f64 v[92:93], v[182:183], v[184:185]
	v_add_f64 v[90:91], v[50:51], -v[188:189]
	v_add_f64 v[88:89], v[104:105], v[48:49]
	v_add_f64 v[98:99], v[102:103], v[110:111]
	v_add_f64 v[96:97], v[108:109], -v[100:101]
	v_add_f64 v[100:101], v[100:101], v[108:109]
	v_add_f64 v[102:103], v[110:111], -v[102:103]
	v_add_f64 v[104:105], v[48:49], -v[104:105]
	v_add_f64 v[106:107], v[188:189], v[50:51]
	v_add_f64 v[108:109], v[184:185], -v[182:183]
	v_add_f64 v[110:111], v[180:181], v[186:187]
	ds_write_b128 v196, v[0:3]
	ds_write_b128 v196, v[16:19] offset:784
	ds_write_b128 v196, v[12:15] offset:1568
	;; [unrolled: 1-line block ×13, first 2 shown]
	buffer_load_dword v0, off, s[36:39], 0 offset:2744 ; 4-byte Folded Reload
	v_add_f64 v[48:49], v[168:169], v[176:177]
	v_add_f64 v[50:51], v[170:171], v[178:179]
	v_add_f64 v[168:169], v[168:169], -v[176:177]
	v_add_f64 v[170:171], v[170:171], -v[178:179]
	v_add_f64 v[176:177], v[160:161], v[172:173]
	v_add_f64 v[178:179], v[162:163], v[174:175]
	v_add_f64 v[160:161], v[160:161], -v[172:173]
	v_add_f64 v[162:163], v[162:163], -v[174:175]
	;; [unrolled: 4-line block ×4, first 2 shown]
	v_add_f64 v[48:49], v[48:49], -v[172:173]
	v_add_f64 v[50:51], v[50:51], -v[174:175]
	;; [unrolled: 1-line block ×6, first 2 shown]
	v_add_f64 v[184:185], v[140:141], v[160:161]
	v_add_f64 v[186:187], v[142:143], v[162:163]
	v_add_f64 v[160:161], v[160:161], -v[168:169]
	v_add_f64 v[162:163], v[162:163], -v[170:171]
	;; [unrolled: 1-line block ×4, first 2 shown]
	v_add_f64 v[164:165], v[172:173], v[164:165]
	v_add_f64 v[166:167], v[174:175], v[166:167]
	v_mul_f64 v[172:173], v[188:189], s[22:23]
	v_mul_f64 v[174:175], v[190:191], s[22:23]
	v_add_f64 v[168:169], v[184:185], v[168:169]
	v_add_f64 v[170:171], v[186:187], v[170:171]
	v_mul_f64 v[184:185], v[160:161], s[24:25]
	v_mul_f64 v[186:187], v[162:163], s[24:25]
	;; [unrolled: 4-line block ×3, first 2 shown]
	v_mul_f64 v[48:49], v[176:177], s[6:7]
	v_mul_f64 v[50:51], v[178:179], s[6:7]
	v_fma_f64 v[160:161], v[160:161], s[4:5], -v[172:173]
	v_fma_f64 v[162:163], v[162:163], s[4:5], -v[174:175]
	v_fma_f64 v[164:165], v[164:165], s[20:21], v[140:141]
	v_fma_f64 v[166:167], v[166:167], s[20:21], v[142:143]
	;; [unrolled: 1-line block ×4, first 2 shown]
	v_fma_f64 v[48:49], v[180:181], s[14:15], -v[48:49]
	v_fma_f64 v[50:51], v[182:183], s[14:15], -v[50:51]
	v_fma_f64 v[44:45], v[180:181], s[16:17], -v[44:45]
	v_fma_f64 v[46:47], v[182:183], s[16:17], -v[46:47]
	v_fma_f64 v[180:181], v[192:193], s[18:19], v[172:173]
	v_fma_f64 v[182:183], v[194:195], s[18:19], v[174:175]
	;; [unrolled: 1-line block ×6, first 2 shown]
	v_add_f64 v[192:193], v[176:177], v[164:165]
	v_add_f64 v[194:195], v[178:179], v[166:167]
	;; [unrolled: 1-line block ×6, first 2 shown]
	v_fma_f64 v[164:165], v[168:169], s[2:3], v[180:181]
	v_fma_f64 v[166:167], v[170:171], s[2:3], v[182:183]
	;; [unrolled: 1-line block ×4, first 2 shown]
	v_add_f64 v[180:181], v[48:49], -v[162:163]
	v_add_f64 v[182:183], v[160:161], v[50:51]
	v_add_f64 v[184:185], v[162:163], v[48:49]
	v_add_f64 v[186:187], v[50:51], -v[160:161]
	v_add_f64 v[178:179], v[194:195], -v[164:165]
	v_add_f64 v[176:177], v[166:167], v[192:193]
	v_add_f64 v[174:175], v[46:47], -v[168:169]
	v_add_f64 v[172:173], v[170:171], v[44:45]
	;; [unrolled: 2-line block ×4, first 2 shown]
	s_waitcnt vmcnt(0)
	ds_write_b128 v0, v[140:143] offset:10976
	ds_write_b128 v0, v[176:179] offset:11760
	;; [unrolled: 1-line block ×7, first 2 shown]
	buffer_load_dword v0, off, s[36:39], 0 offset:2444 ; 4-byte Folded Reload
	v_add_f64 v[44:45], v[130:131], v[156:157]
	v_add_f64 v[46:47], v[134:135], v[158:159]
	v_add_f64 v[48:49], v[130:131], -v[156:157]
	v_add_f64 v[50:51], v[134:135], -v[158:159]
	v_add_f64 v[130:131], v[136:137], v[152:153]
	v_add_f64 v[134:135], v[138:139], v[154:155]
	v_add_f64 v[136:137], v[136:137], -v[152:153]
	v_add_f64 v[138:139], v[138:139], -v[154:155]
	;; [unrolled: 4-line block ×4, first 2 shown]
	v_add_f64 v[44:45], v[44:45], -v[152:153]
	v_add_f64 v[46:47], v[46:47], -v[154:155]
	v_add_f64 v[130:131], v[152:153], -v[130:131]
	v_add_f64 v[134:135], v[154:155], -v[134:135]
	v_add_f64 v[164:165], v[144:145], -v[136:137]
	v_add_f64 v[166:167], v[146:147], -v[138:139]
	v_add_f64 v[160:161], v[144:145], v[136:137]
	v_add_f64 v[162:163], v[146:147], v[138:139]
	v_add_f64 v[136:137], v[136:137], -v[48:49]
	v_add_f64 v[138:139], v[138:139], -v[50:51]
	;; [unrolled: 1-line block ×4, first 2 shown]
	v_add_f64 v[148:149], v[152:153], v[148:149]
	v_add_f64 v[150:151], v[154:155], v[150:151]
	v_mul_f64 v[152:153], v[164:165], s[22:23]
	v_mul_f64 v[154:155], v[166:167], s[22:23]
	v_add_f64 v[48:49], v[160:161], v[48:49]
	v_add_f64 v[50:51], v[162:163], v[50:51]
	v_mul_f64 v[160:161], v[136:137], s[24:25]
	v_mul_f64 v[162:163], v[138:139], s[24:25]
	;; [unrolled: 4-line block ×3, first 2 shown]
	v_mul_f64 v[44:45], v[130:131], s[6:7]
	v_mul_f64 v[46:47], v[134:135], s[6:7]
	v_fma_f64 v[136:137], v[136:137], s[4:5], -v[152:153]
	v_fma_f64 v[138:139], v[138:139], s[4:5], -v[154:155]
	v_fma_f64 v[148:149], v[148:149], s[20:21], v[144:145]
	v_fma_f64 v[150:151], v[150:151], s[20:21], v[146:147]
	;; [unrolled: 1-line block ×4, first 2 shown]
	v_fma_f64 v[44:45], v[156:157], s[14:15], -v[44:45]
	v_fma_f64 v[46:47], v[158:159], s[14:15], -v[46:47]
	;; [unrolled: 1-line block ×4, first 2 shown]
	v_fma_f64 v[156:157], v[168:169], s[18:19], v[152:153]
	v_fma_f64 v[158:159], v[170:171], s[18:19], v[154:155]
	;; [unrolled: 1-line block ×6, first 2 shown]
	v_add_f64 v[130:131], v[130:131], v[148:149]
	v_add_f64 v[134:135], v[134:135], v[150:151]
	;; [unrolled: 1-line block ×6, first 2 shown]
	v_fma_f64 v[150:151], v[48:49], s[2:3], v[156:157]
	v_fma_f64 v[148:149], v[50:51], s[2:3], v[158:159]
	;; [unrolled: 1-line block ×4, first 2 shown]
	v_add_f64 v[160:161], v[44:45], -v[138:139]
	v_add_f64 v[162:163], v[136:137], v[46:47]
	v_add_f64 v[156:157], v[138:139], v[44:45]
	v_add_f64 v[158:159], v[46:47], -v[136:137]
	v_add_f64 v[170:171], v[134:135], -v[150:151]
	v_add_f64 v[168:169], v[148:149], v[130:131]
	v_add_f64 v[166:167], v[42:43], -v[48:49]
	v_add_f64 v[164:165], v[50:51], v[40:41]
	;; [unrolled: 2-line block ×4, first 2 shown]
	s_waitcnt vmcnt(0)
	ds_write_b128 v0, v[144:147] offset:16464
	ds_write_b128 v0, v[168:171] offset:17248
	;; [unrolled: 1-line block ×7, first 2 shown]
	buffer_load_dword v0, off, s[36:39], 0 offset:1888 ; 4-byte Folded Reload
	v_add_f64 v[40:41], v[112:113], v[128:129]
	v_add_f64 v[42:43], v[114:115], v[132:133]
	;; [unrolled: 1-line block ×4, first 2 shown]
	v_add_f64 v[44:45], v[112:113], -v[128:129]
	v_add_f64 v[46:47], v[114:115], -v[132:133]
	v_add_f64 v[86:87], v[116:117], -v[86:87]
	v_add_f64 v[112:113], v[118:119], -v[126:127]
	v_add_f64 v[114:115], v[120:121], v[124:125]
	v_add_f64 v[116:117], v[122:123], v[84:85]
	v_add_f64 v[118:119], v[124:125], -v[120:121]
	v_add_f64 v[84:85], v[84:85], -v[122:123]
	v_add_f64 v[120:121], v[48:49], v[40:41]
	v_add_f64 v[122:123], v[50:51], v[42:43]
	v_add_f64 v[124:125], v[48:49], -v[40:41]
	v_add_f64 v[126:127], v[50:51], -v[42:43]
	;; [unrolled: 1-line block ×7, first 2 shown]
	v_add_f64 v[128:129], v[118:119], v[86:87]
	v_add_f64 v[132:133], v[118:119], -v[86:87]
	v_add_f64 v[134:135], v[84:85], -v[112:113]
	v_add_f64 v[130:131], v[84:85], v[112:113]
	v_add_f64 v[86:87], v[86:87], -v[44:45]
	v_add_f64 v[118:119], v[44:45], -v[118:119]
	v_add_f64 v[84:85], v[46:47], -v[84:85]
	v_add_f64 v[120:121], v[114:115], v[120:121]
	v_add_f64 v[116:117], v[116:117], v[122:123]
	;; [unrolled: 1-line block ×3, first 2 shown]
	v_mul_f64 v[122:123], v[132:133], s[22:23]
	v_mul_f64 v[128:129], v[134:135], s[22:23]
	v_add_f64 v[46:47], v[130:131], v[46:47]
	v_mul_f64 v[130:131], v[86:87], s[24:25]
	v_mul_f64 v[132:133], v[136:137], s[24:25]
	v_add_f64 v[112:113], v[28:29], v[120:121]
	v_add_f64 v[114:115], v[30:31], v[116:117]
	v_mul_f64 v[28:29], v[40:41], s[26:27]
	v_mul_f64 v[30:31], v[42:43], s[26:27]
	;; [unrolled: 1-line block ×4, first 2 shown]
	v_fma_f64 v[86:87], v[86:87], s[4:5], -v[122:123]
	v_fma_f64 v[120:121], v[120:121], s[20:21], v[112:113]
	v_fma_f64 v[116:117], v[116:117], s[20:21], v[114:115]
	;; [unrolled: 1-line block ×4, first 2 shown]
	v_fma_f64 v[40:41], v[124:125], s[14:15], -v[40:41]
	v_fma_f64 v[42:43], v[126:127], s[14:15], -v[42:43]
	v_fma_f64 v[28:29], v[124:125], s[16:17], -v[28:29]
	v_fma_f64 v[30:31], v[126:127], s[16:17], -v[30:31]
	v_fma_f64 v[124:125], v[118:119], s[18:19], v[122:123]
	v_fma_f64 v[126:127], v[84:85], s[18:19], v[128:129]
	v_fma_f64 v[122:123], v[136:137], s[4:5], -v[128:129]
	v_fma_f64 v[118:119], v[118:119], s[8:9], v[130:131]
	v_fma_f64 v[84:85], v[84:85], s[8:9], v[132:133]
	;; [unrolled: 1-line block ×3, first 2 shown]
	v_add_f64 v[48:49], v[48:49], v[120:121]
	v_add_f64 v[50:51], v[50:51], v[116:117]
	;; [unrolled: 1-line block ×6, first 2 shown]
	v_fma_f64 v[197:198], v[44:45], s[2:3], v[124:125]
	v_fma_f64 v[116:117], v[46:47], s[2:3], v[126:127]
	;; [unrolled: 1-line block ×5, first 2 shown]
	v_add_f64 v[130:131], v[86:87], v[42:43]
	v_add_f64 v[126:127], v[42:43], -v[86:87]
	v_add_f64 v[42:43], v[72:73], -v[82:83]
	;; [unrolled: 1-line block ×3, first 2 shown]
	v_add_f64 v[136:137], v[116:117], v[48:49]
	v_add_f64 v[128:129], v[40:41], -v[120:121]
	v_add_f64 v[134:135], v[30:31], -v[44:45]
	v_add_f64 v[132:133], v[46:47], v[28:29]
	v_add_f64 v[124:125], v[120:121], v[40:41]
	v_add_f64 v[120:121], v[28:29], -v[46:47]
	v_add_f64 v[122:123], v[44:45], v[30:31]
	v_add_f64 v[116:117], v[48:49], -v[116:117]
	v_add_f64 v[118:119], v[197:198], v[50:51]
	s_waitcnt vmcnt(0)
	ds_write_b128 v0, v[112:115] offset:21952
	ds_write_b128 v0, v[136:139] offset:22736
	;; [unrolled: 1-line block ×7, first 2 shown]
	buffer_load_dword v0, off, s[36:39], 0 offset:1136 ; 4-byte Folded Reload
	v_add_f64 v[28:29], v[76:77], v[80:81]
	v_add_f64 v[30:31], v[72:73], v[82:83]
	;; [unrolled: 1-line block ×4, first 2 shown]
	v_add_f64 v[48:49], v[74:75], -v[62:63]
	v_add_f64 v[50:51], v[68:69], -v[78:79]
	v_add_f64 v[62:63], v[70:71], v[66:67]
	v_add_f64 v[68:69], v[64:65], v[60:61]
	v_add_f64 v[66:67], v[66:67], -v[70:71]
	v_add_f64 v[60:61], v[60:61], -v[64:65]
	;; [unrolled: 1-line block ×3, first 2 shown]
	v_add_f64 v[64:65], v[44:45], v[28:29]
	v_add_f64 v[70:71], v[46:47], v[30:31]
	v_add_f64 v[72:73], v[44:45], -v[28:29]
	v_add_f64 v[74:75], v[46:47], -v[30:31]
	;; [unrolled: 1-line block ×6, first 2 shown]
	v_add_f64 v[76:77], v[66:67], v[48:49]
	v_add_f64 v[80:81], v[66:67], -v[48:49]
	v_add_f64 v[82:83], v[60:61], -v[50:51]
	v_add_f64 v[78:79], v[60:61], v[50:51]
	v_add_f64 v[48:49], v[48:49], -v[40:41]
	v_add_f64 v[50:51], v[50:51], -v[42:43]
	;; [unrolled: 1-line block ×4, first 2 shown]
	v_add_f64 v[64:65], v[62:63], v[64:65]
	v_add_f64 v[68:69], v[68:69], v[70:71]
	;; [unrolled: 1-line block ×3, first 2 shown]
	v_mul_f64 v[70:71], v[80:81], s[22:23]
	v_mul_f64 v[76:77], v[82:83], s[22:23]
	v_add_f64 v[42:43], v[78:79], v[42:43]
	v_mul_f64 v[78:79], v[48:49], s[24:25]
	v_mul_f64 v[80:81], v[50:51], s[24:25]
	v_add_f64 v[60:61], v[8:9], v[64:65]
	v_add_f64 v[62:63], v[10:11], v[68:69]
	v_mul_f64 v[8:9], v[28:29], s[26:27]
	v_mul_f64 v[10:11], v[30:31], s[26:27]
	;; [unrolled: 1-line block ×4, first 2 shown]
	v_fma_f64 v[48:49], v[48:49], s[4:5], -v[70:71]
	v_fma_f64 v[50:51], v[50:51], s[4:5], -v[76:77]
	v_fma_f64 v[64:65], v[64:65], s[20:21], v[60:61]
	v_fma_f64 v[68:69], v[68:69], s[20:21], v[62:63]
	;; [unrolled: 1-line block ×4, first 2 shown]
	v_fma_f64 v[28:29], v[72:73], s[14:15], -v[28:29]
	v_fma_f64 v[30:31], v[74:75], s[14:15], -v[30:31]
	;; [unrolled: 1-line block ×4, first 2 shown]
	v_fma_f64 v[72:73], v[66:67], s[18:19], v[70:71]
	v_fma_f64 v[74:75], v[84:85], s[18:19], v[76:77]
	;; [unrolled: 1-line block ×6, first 2 shown]
	v_add_f64 v[44:45], v[44:45], v[64:65]
	v_add_f64 v[46:47], v[46:47], v[68:69]
	;; [unrolled: 1-line block ×6, first 2 shown]
	v_fma_f64 v[197:198], v[40:41], s[2:3], v[72:73]
	v_fma_f64 v[64:65], v[42:43], s[2:3], v[74:75]
	;; [unrolled: 1-line block ×4, first 2 shown]
	v_add_f64 v[76:77], v[28:29], -v[50:51]
	v_add_f64 v[78:79], v[48:49], v[30:31]
	v_add_f64 v[72:73], v[50:51], v[28:29]
	v_add_f64 v[74:75], v[30:31], -v[48:49]
	v_add_f64 v[86:87], v[46:47], -v[197:198]
	v_add_f64 v[84:85], v[64:65], v[44:45]
	v_add_f64 v[82:83], v[10:11], -v[40:41]
	v_add_f64 v[80:81], v[42:43], v[8:9]
	;; [unrolled: 2-line block ×4, first 2 shown]
	s_waitcnt vmcnt(0)
	ds_write_b128 v0, v[60:63] offset:27440
	ds_write_b128 v0, v[84:87] offset:28224
	ds_write_b128 v0, v[80:83] offset:29008
	ds_write_b128 v0, v[76:79] offset:29792
	ds_write_b128 v0, v[72:75] offset:30576
	ds_write_b128 v0, v[68:71] offset:31360
	ds_write_b128 v0, v[64:67] offset:32144
	buffer_load_dword v0, off, s[36:39], 0 offset:796 ; 4-byte Folded Reload
	v_add_f64 v[8:9], v[52:53], v[212:213]
	v_add_f64 v[10:11], v[54:55], v[214:215]
	v_add_f64 v[40:41], v[226:227], v[208:209]
	v_add_f64 v[42:43], v[228:229], v[210:211]
	v_add_f64 v[28:29], v[52:53], -v[212:213]
	v_add_f64 v[30:31], v[54:55], -v[214:215]
	;; [unrolled: 1-line block ×4, first 2 shown]
	v_add_f64 v[48:49], v[200:201], v[204:205]
	v_add_f64 v[50:51], v[202:203], v[206:207]
	v_add_f64 v[52:53], v[204:205], -v[200:201]
	v_add_f64 v[54:55], v[206:207], -v[202:203]
	v_add_f64 v[197:198], v[40:41], v[8:9]
	v_add_f64 v[199:200], v[42:43], v[10:11]
	v_add_f64 v[201:202], v[40:41], -v[8:9]
	v_add_f64 v[203:204], v[42:43], -v[10:11]
	;; [unrolled: 1-line block ×6, first 2 shown]
	v_add_f64 v[205:206], v[52:53], v[44:45]
	v_add_f64 v[207:208], v[54:55], v[46:47]
	v_add_f64 v[209:210], v[52:53], -v[44:45]
	v_add_f64 v[211:212], v[54:55], -v[46:47]
	;; [unrolled: 1-line block ×6, first 2 shown]
	v_add_f64 v[48:49], v[48:49], v[197:198]
	v_add_f64 v[50:51], v[50:51], v[199:200]
	v_mul_f64 v[8:9], v[8:9], s[26:27]
	v_mul_f64 v[10:11], v[10:11], s[26:27]
	;; [unrolled: 1-line block ×4, first 2 shown]
	v_add_f64 v[28:29], v[205:206], v[28:29]
	v_add_f64 v[30:31], v[207:208], v[30:31]
	v_mul_f64 v[205:206], v[209:210], s[22:23]
	v_mul_f64 v[207:208], v[211:212], s[22:23]
	v_mul_f64 v[209:210], v[44:45], s[24:25]
	v_mul_f64 v[211:212], v[46:47], s[24:25]
	v_add_f64 v[4:5], v[4:5], v[48:49]
	v_add_f64 v[6:7], v[6:7], v[50:51]
	v_fma_f64 v[40:41], v[40:41], s[6:7], v[8:9]
	v_fma_f64 v[42:43], v[42:43], s[6:7], v[10:11]
	v_fma_f64 v[197:198], v[201:202], s[14:15], -v[197:198]
	v_fma_f64 v[199:200], v[203:204], s[14:15], -v[199:200]
	;; [unrolled: 1-line block ×4, first 2 shown]
	v_fma_f64 v[201:202], v[52:53], s[18:19], v[205:206]
	v_fma_f64 v[203:204], v[54:55], s[18:19], v[207:208]
	v_fma_f64 v[44:45], v[44:45], s[4:5], -v[205:206]
	v_fma_f64 v[52:53], v[52:53], s[8:9], v[209:210]
	v_fma_f64 v[54:55], v[54:55], s[8:9], v[211:212]
	v_fma_f64 v[46:47], v[46:47], s[4:5], -v[207:208]
	v_fma_f64 v[48:49], v[48:49], s[20:21], v[4:5]
	v_fma_f64 v[50:51], v[50:51], s[20:21], v[6:7]
	;; [unrolled: 1-line block ×3, first 2 shown]
	v_add_f64 v[205:206], v[40:41], v[48:49]
	v_add_f64 v[207:208], v[42:43], v[50:51]
	;; [unrolled: 1-line block ×4, first 2 shown]
	v_fma_f64 v[197:198], v[28:29], s[2:3], v[201:202]
	v_fma_f64 v[199:200], v[30:31], s[2:3], v[203:204]
	v_add_f64 v[8:9], v[8:9], v[48:49]
	v_add_f64 v[10:11], v[10:11], v[50:51]
	v_fma_f64 v[201:202], v[28:29], s[2:3], v[44:45]
	v_fma_f64 v[28:29], v[30:31], s[2:3], v[54:55]
	;; [unrolled: 1-line block ×3, first 2 shown]
	v_add_f64 v[54:55], v[207:208], -v[197:198]
	v_add_f64 v[52:53], v[199:200], v[205:206]
	v_add_f64 v[50:51], v[10:11], -v[209:210]
	v_add_f64 v[46:47], v[201:202], v[42:43]
	v_add_f64 v[48:49], v[28:29], v[8:9]
	v_add_f64 v[44:45], v[40:41], -v[203:204]
	v_add_f64 v[40:41], v[203:204], v[40:41]
	v_add_f64 v[42:43], v[42:43], -v[201:202]
	v_add_f64 v[28:29], v[8:9], -v[28:29]
	v_add_f64 v[30:31], v[209:210], v[10:11]
	v_add_f64 v[8:9], v[205:206], -v[199:200]
	v_add_f64 v[10:11], v[197:198], v[207:208]
	s_waitcnt vmcnt(0)
	ds_write_b128 v0, v[4:7] offset:32928
	ds_write_b128 v0, v[52:55] offset:33712
	;; [unrolled: 1-line block ×7, first 2 shown]
	s_waitcnt lgkmcnt(0)
	s_barrier
	buffer_gl0_inv
	ds_read_b128 v[199:202], v196
	ds_read_b128 v[192:195], v196 offset:5488
	ds_read_b128 v[188:191], v196 offset:10976
	;; [unrolled: 1-line block ×21, first 2 shown]
	s_waitcnt lgkmcnt(0)
	buffer_store_dword v0, off, s[36:39], 0 offset:956 ; 4-byte Folded Spill
	buffer_store_dword v1, off, s[36:39], 0 offset:960 ; 4-byte Folded Spill
	buffer_store_dword v2, off, s[36:39], 0 offset:964 ; 4-byte Folded Spill
	buffer_store_dword v3, off, s[36:39], 0 offset:968 ; 4-byte Folded Spill
	ds_read_b128 v[120:123], v196 offset:7840
	ds_read_b128 v[116:119], v196 offset:13328
	ds_read_b128 v[112:115], v196 offset:18816
	ds_read_b128 v[108:111], v196 offset:24304
	ds_read_b128 v[104:107], v196 offset:29792
	ds_read_b128 v[100:103], v196 offset:35280
	ds_read_b128 v[0:3], v196 offset:3136
	s_waitcnt lgkmcnt(0)
	buffer_store_dword v0, off, s[36:39], 0 offset:940 ; 4-byte Folded Spill
	buffer_store_dword v1, off, s[36:39], 0 offset:944 ; 4-byte Folded Spill
	buffer_store_dword v2, off, s[36:39], 0 offset:948 ; 4-byte Folded Spill
	buffer_store_dword v3, off, s[36:39], 0 offset:952 ; 4-byte Folded Spill
	ds_read_b128 v[96:99], v196 offset:8624
	ds_read_b128 v[92:95], v196 offset:14112
	ds_read_b128 v[88:91], v196 offset:19600
	ds_read_b128 v[84:87], v196 offset:25088
	ds_read_b128 v[80:83], v196 offset:30576
	ds_read_b128 v[76:79], v196 offset:36064
	ds_read_b128 v[0:3], v196 offset:3920
	;; [unrolled: 12-line block ×3, first 2 shown]
	s_waitcnt lgkmcnt(0)
	buffer_store_dword v0, off, s[36:39], 0 offset:796 ; 4-byte Folded Spill
	buffer_store_dword v1, off, s[36:39], 0 offset:800 ; 4-byte Folded Spill
	;; [unrolled: 1-line block ×4, first 2 shown]
	ds_read_b128 v[36:39], v196 offset:10192
	ds_read_b128 v[28:31], v196 offset:15680
	;; [unrolled: 1-line block ×6, first 2 shown]
	s_clause 0x3
	buffer_load_dword v0, off, s[36:39], 0 offset:812
	buffer_load_dword v1, off, s[36:39], 0 offset:816
	;; [unrolled: 1-line block ×4, first 2 shown]
	s_waitcnt vmcnt(0)
	v_mul_f64 v[197:198], v[2:3], v[194:195]
	v_fma_f64 v[248:249], v[0:1], v[192:193], v[197:198]
	v_mul_f64 v[192:193], v[2:3], v[192:193]
	v_fma_f64 v[250:251], v[0:1], v[194:195], -v[192:193]
	s_clause 0x3
	buffer_load_dword v0, off, s[36:39], 0 offset:828
	buffer_load_dword v1, off, s[36:39], 0 offset:832
	;; [unrolled: 1-line block ×4, first 2 shown]
	s_waitcnt vmcnt(0)
	v_mul_f64 v[192:193], v[2:3], v[190:191]
	v_fma_f64 v[252:253], v[0:1], v[188:189], v[192:193]
	v_mul_f64 v[188:189], v[2:3], v[188:189]
	v_fma_f64 v[254:255], v[0:1], v[190:191], -v[188:189]
	s_clause 0x3
	buffer_load_dword v0, off, s[36:39], 0 offset:844
	buffer_load_dword v1, off, s[36:39], 0 offset:848
	;; [unrolled: 1-line block ×4, first 2 shown]
	s_waitcnt vmcnt(0)
	v_mul_f64 v[188:189], v[2:3], v[186:187]
	v_mul_f64 v[2:3], v[2:3], v[184:185]
	v_fma_f64 v[32:33], v[0:1], v[184:185], v[188:189]
	v_fma_f64 v[8:9], v[0:1], v[186:187], -v[2:3]
	s_clause 0x7
	buffer_load_dword v0, off, s[36:39], 0 offset:860
	buffer_load_dword v1, off, s[36:39], 0 offset:864
	;; [unrolled: 1-line block ×8, first 2 shown]
	s_waitcnt vmcnt(4)
	v_mul_f64 v[184:185], v[2:3], v[182:183]
	v_mul_f64 v[6:7], v[2:3], v[180:181]
	s_waitcnt vmcnt(0)
	v_mul_f64 v[10:11], v[70:71], v[176:177]
	v_fma_f64 v[4:5], v[0:1], v[180:181], v[184:185]
	v_mul_f64 v[180:181], v[70:71], v[178:179]
	v_fma_f64 v[10:11], v[68:69], v[178:179], -v[10:11]
	v_fma_f64 v[6:7], v[0:1], v[182:183], -v[6:7]
	v_fma_f64 v[2:3], v[68:69], v[176:177], v[180:181]
	s_clause 0x3
	buffer_load_dword v68, off, s[36:39], 0 offset:892
	buffer_load_dword v69, off, s[36:39], 0 offset:896
	;; [unrolled: 1-line block ×4, first 2 shown]
	s_waitcnt vmcnt(0)
	v_mul_f64 v[176:177], v[70:71], v[170:171]
	v_mul_f64 v[34:35], v[70:71], v[168:169]
	v_fma_f64 v[0:1], v[68:69], v[168:169], v[176:177]
	v_fma_f64 v[70:71], v[68:69], v[170:171], -v[34:35]
	s_clause 0x3
	buffer_load_dword v168, off, s[36:39], 0 offset:924
	buffer_load_dword v169, off, s[36:39], 0 offset:928
	buffer_load_dword v170, off, s[36:39], 0 offset:932
	buffer_load_dword v171, off, s[36:39], 0 offset:936
	s_waitcnt vmcnt(0)
	v_mul_f64 v[34:35], v[170:171], v[174:175]
	v_fma_f64 v[234:235], v[168:169], v[172:173], v[34:35]
	v_mul_f64 v[34:35], v[170:171], v[172:173]
	v_fma_f64 v[236:237], v[168:169], v[174:175], -v[34:35]
	s_clause 0x3
	buffer_load_dword v168, off, s[36:39], 0 offset:972
	buffer_load_dword v169, off, s[36:39], 0 offset:976
	buffer_load_dword v170, off, s[36:39], 0 offset:980
	buffer_load_dword v171, off, s[36:39], 0 offset:984
	s_waitcnt vmcnt(0)
	v_mul_f64 v[34:35], v[170:171], v[166:167]
	v_fma_f64 v[226:227], v[168:169], v[164:165], v[34:35]
	v_mul_f64 v[34:35], v[170:171], v[164:165]
	;; [unrolled: 10-line block ×19, first 2 shown]
	v_add_f64 v[102:103], v[112:113], v[108:109]
	v_fma_f64 v[138:139], v[124:125], v[98:99], -v[96:97]
	s_clause 0x3
	buffer_load_dword v124, off, s[36:39], 0 offset:1740
	buffer_load_dword v125, off, s[36:39], 0 offset:1744
	buffer_load_dword v126, off, s[36:39], 0 offset:1748
	buffer_load_dword v127, off, s[36:39], 0 offset:1752
	s_waitcnt vmcnt(0)
	v_mul_f64 v[96:97], v[126:127], v[94:95]
	v_fma_f64 v[128:129], v[124:125], v[92:93], v[96:97]
	v_mul_f64 v[92:93], v[126:127], v[92:93]
	v_fma_f64 v[130:131], v[124:125], v[94:95], -v[92:93]
	s_clause 0x3
	buffer_load_dword v94, off, s[36:39], 0 offset:1772
	buffer_load_dword v95, off, s[36:39], 0 offset:1776
	buffer_load_dword v96, off, s[36:39], 0 offset:1780
	buffer_load_dword v97, off, s[36:39], 0 offset:1784
	s_waitcnt vmcnt(0)
	v_mul_f64 v[92:93], v[96:97], v[90:91]
	v_fma_f64 v[124:125], v[94:95], v[88:89], v[92:93]
	v_mul_f64 v[88:89], v[96:97], v[88:89]
	;; [unrolled: 10-line block ×5, first 2 shown]
	v_fma_f64 v[146:147], v[82:83], v[78:79], -v[76:77]
	s_clause 0x3
	buffer_load_dword v78, off, s[36:39], 0 offset:2020
	buffer_load_dword v79, off, s[36:39], 0 offset:2024
	buffer_load_dword v80, off, s[36:39], 0 offset:2028
	buffer_load_dword v81, off, s[36:39], 0 offset:2032
	v_add_f64 v[82:83], v[208:209], -v[197:198]
	s_waitcnt vmcnt(0)
	v_mul_f64 v[76:77], v[80:81], v[66:67]
	v_fma_f64 v[160:161], v[78:79], v[64:65], v[76:77]
	v_mul_f64 v[64:65], v[80:81], v[64:65]
	v_add_f64 v[80:81], v[197:198], v[208:209]
	v_fma_f64 v[162:163], v[78:79], v[66:67], -v[64:65]
	s_clause 0x3
	buffer_load_dword v76, off, s[36:39], 0 offset:2068
	buffer_load_dword v77, off, s[36:39], 0 offset:2072
	buffer_load_dword v78, off, s[36:39], 0 offset:2076
	buffer_load_dword v79, off, s[36:39], 0 offset:2080
	s_waitcnt vmcnt(0)
	v_mul_f64 v[64:65], v[78:79], v[62:63]
	v_fma_f64 v[152:153], v[76:77], v[60:61], v[64:65]
	v_mul_f64 v[60:61], v[78:79], v[60:61]
	v_fma_f64 v[154:155], v[76:77], v[62:63], -v[60:61]
	s_clause 0x3
	buffer_load_dword v62, off, s[36:39], 0 offset:2084
	buffer_load_dword v63, off, s[36:39], 0 offset:2088
	buffer_load_dword v64, off, s[36:39], 0 offset:2092
	buffer_load_dword v65, off, s[36:39], 0 offset:2096
	s_waitcnt vmcnt(0)
	v_mul_f64 v[60:61], v[64:65], v[58:59]
	v_fma_f64 v[148:149], v[62:63], v[56:57], v[60:61]
	v_mul_f64 v[56:57], v[64:65], v[56:57]
	v_fma_f64 v[150:151], v[62:63], v[58:59], -v[56:57]
	s_clause 0x3
	buffer_load_dword v58, off, s[36:39], 0 offset:2100
	buffer_load_dword v59, off, s[36:39], 0 offset:2104
	buffer_load_dword v60, off, s[36:39], 0 offset:2108
	buffer_load_dword v61, off, s[36:39], 0 offset:2112
	s_waitcnt vmcnt(0)
	v_mul_f64 v[56:57], v[60:61], v[54:55]
	v_fma_f64 v[156:157], v[58:59], v[52:53], v[56:57]
	v_mul_f64 v[52:53], v[60:61], v[52:53]
	v_fma_f64 v[158:159], v[58:59], v[54:55], -v[52:53]
	s_clause 0x3
	buffer_load_dword v54, off, s[36:39], 0 offset:2180
	buffer_load_dword v55, off, s[36:39], 0 offset:2184
	buffer_load_dword v56, off, s[36:39], 0 offset:2188
	buffer_load_dword v57, off, s[36:39], 0 offset:2192
	s_waitcnt vmcnt(0)
	v_mul_f64 v[52:53], v[56:57], v[50:51]
	v_fma_f64 v[164:165], v[54:55], v[48:49], v[52:53]
	v_mul_f64 v[48:49], v[56:57], v[48:49]
	v_add_f64 v[56:57], v[232:233], -v[224:225]
	v_fma_f64 v[166:167], v[54:55], v[50:51], -v[48:49]
	s_clause 0x3
	buffer_load_dword v50, off, s[36:39], 0 offset:2196
	buffer_load_dword v51, off, s[36:39], 0 offset:2200
	;; [unrolled: 1-line block ×4, first 2 shown]
	v_add_f64 v[54:55], v[230:231], -v[222:223]
	s_waitcnt vmcnt(0)
	v_mul_f64 v[48:49], v[52:53], v[46:47]
	v_fma_f64 v[168:169], v[50:51], v[44:45], v[48:49]
	v_mul_f64 v[44:45], v[52:53], v[44:45]
	v_fma_f64 v[170:171], v[50:51], v[46:47], -v[44:45]
	s_clause 0x3
	buffer_load_dword v46, off, s[36:39], 0 offset:2248
	buffer_load_dword v47, off, s[36:39], 0 offset:2252
	;; [unrolled: 1-line block ×4, first 2 shown]
	s_waitcnt vmcnt(0) lgkmcnt(5)
	v_mul_f64 v[44:45], v[48:49], v[38:39]
	v_fma_f64 v[184:185], v[46:47], v[36:37], v[44:45]
	v_mul_f64 v[36:37], v[48:49], v[36:37]
	v_fma_f64 v[186:187], v[46:47], v[38:39], -v[36:37]
	s_clause 0x3
	buffer_load_dword v44, off, s[36:39], 0 offset:2264
	buffer_load_dword v45, off, s[36:39], 0 offset:2268
	;; [unrolled: 1-line block ×4, first 2 shown]
	s_waitcnt vmcnt(0) lgkmcnt(4)
	v_mul_f64 v[36:37], v[46:47], v[30:31]
	v_fma_f64 v[180:181], v[44:45], v[28:29], v[36:37]
	s_clause 0x3
	buffer_load_dword v36, off, s[36:39], 0 offset:2280
	buffer_load_dword v37, off, s[36:39], 0 offset:2284
	;; [unrolled: 1-line block ×4, first 2 shown]
	v_mul_f64 v[28:29], v[46:47], v[28:29]
	v_fma_f64 v[182:183], v[44:45], v[30:31], -v[28:29]
	s_waitcnt vmcnt(0) lgkmcnt(3)
	v_mul_f64 v[28:29], v[38:39], v[26:27]
	v_fma_f64 v[172:173], v[36:37], v[24:25], v[28:29]
	v_mul_f64 v[24:25], v[38:39], v[24:25]
	v_fma_f64 v[174:175], v[36:37], v[26:27], -v[24:25]
	s_clause 0x3
	buffer_load_dword v26, off, s[36:39], 0 offset:2296
	buffer_load_dword v27, off, s[36:39], 0 offset:2300
	;; [unrolled: 1-line block ×4, first 2 shown]
	s_waitcnt vmcnt(0) lgkmcnt(2)
	v_mul_f64 v[24:25], v[28:29], v[22:23]
	v_fma_f64 v[176:177], v[26:27], v[20:21], v[24:25]
	v_mul_f64 v[20:21], v[28:29], v[20:21]
	v_fma_f64 v[178:179], v[26:27], v[22:23], -v[20:21]
	s_clause 0x3
	buffer_load_dword v22, off, s[36:39], 0 offset:2380
	buffer_load_dword v23, off, s[36:39], 0 offset:2384
	;; [unrolled: 1-line block ×4, first 2 shown]
	s_waitcnt vmcnt(0) lgkmcnt(1)
	v_mul_f64 v[20:21], v[24:25], v[18:19]
	v_fma_f64 v[188:189], v[22:23], v[16:17], v[20:21]
	v_mul_f64 v[16:17], v[24:25], v[16:17]
	v_add_f64 v[24:25], v[8:9], v[6:7]
	v_add_f64 v[6:7], v[6:7], -v[8:9]
	v_fma_f64 v[190:191], v[22:23], v[18:19], -v[16:17]
	s_clause 0x3
	buffer_load_dword v18, off, s[36:39], 0 offset:2396
	buffer_load_dword v19, off, s[36:39], 0 offset:2400
	buffer_load_dword v20, off, s[36:39], 0 offset:2404
	buffer_load_dword v21, off, s[36:39], 0 offset:2408
	v_add_f64 v[22:23], v[32:33], v[4:5]
	v_add_f64 v[4:5], v[4:5], -v[32:33]
	s_waitcnt vmcnt(0) lgkmcnt(0)
	v_mul_f64 v[16:17], v[20:21], v[14:15]
	v_fma_f64 v[192:193], v[18:19], v[12:13], v[16:17]
	v_mul_f64 v[12:13], v[20:21], v[12:13]
	v_add_f64 v[20:21], v[254:255], v[10:11]
	v_add_f64 v[10:11], v[254:255], -v[10:11]
	v_add_f64 v[16:17], v[250:251], -v[70:71]
	v_fma_f64 v[194:195], v[18:19], v[14:15], -v[12:13]
	v_add_f64 v[12:13], v[248:249], v[0:1]
	v_add_f64 v[14:15], v[250:251], v[70:71]
	;; [unrolled: 1-line block ×3, first 2 shown]
	v_add_f64 v[0:1], v[248:249], -v[0:1]
	v_add_f64 v[2:3], v[252:253], -v[2:3]
	v_add_f64 v[36:37], v[6:7], v[10:11]
	v_add_f64 v[44:45], v[6:7], -v[10:11]
	v_add_f64 v[6:7], v[16:17], -v[6:7]
	;; [unrolled: 1-line block ×3, first 2 shown]
	v_add_f64 v[26:27], v[20:21], v[14:15]
	v_add_f64 v[8:9], v[18:19], v[12:13]
	v_add_f64 v[28:29], v[18:19], -v[12:13]
	v_add_f64 v[30:31], v[20:21], -v[14:15]
	;; [unrolled: 1-line block ×6, first 2 shown]
	v_add_f64 v[32:33], v[4:5], v[2:3]
	v_add_f64 v[38:39], v[4:5], -v[2:3]
	v_add_f64 v[2:3], v[2:3], -v[0:1]
	;; [unrolled: 1-line block ×3, first 2 shown]
	v_add_f64 v[16:17], v[36:37], v[16:17]
	v_mul_f64 v[48:49], v[46:47], s[24:25]
	v_add_f64 v[24:25], v[24:25], v[26:27]
	v_add_f64 v[22:23], v[22:23], v[8:9]
	v_mul_f64 v[12:13], v[12:13], s[26:27]
	v_mul_f64 v[14:15], v[14:15], s[26:27]
	;; [unrolled: 1-line block ×3, first 2 shown]
	v_add_f64 v[0:1], v[32:33], v[0:1]
	v_mul_f64 v[32:33], v[20:21], s[6:7]
	v_mul_f64 v[36:37], v[38:39], s[22:23]
	;; [unrolled: 1-line block ×4, first 2 shown]
	v_add_f64 v[10:11], v[201:202], v[24:25]
	v_add_f64 v[8:9], v[199:200], v[22:23]
	v_fma_f64 v[18:19], v[18:19], s[6:7], v[12:13]
	v_fma_f64 v[20:21], v[20:21], s[6:7], v[14:15]
	v_fma_f64 v[26:27], v[28:29], s[14:15], -v[26:27]
	v_fma_f64 v[12:13], v[28:29], s[16:17], -v[12:13]
	;; [unrolled: 1-line block ×4, first 2 shown]
	v_fma_f64 v[28:29], v[4:5], s[18:19], v[36:37]
	v_fma_f64 v[30:31], v[6:7], s[18:19], v[38:39]
	v_fma_f64 v[2:3], v[2:3], s[4:5], -v[36:37]
	v_fma_f64 v[36:37], v[46:47], s[4:5], -v[38:39]
	v_fma_f64 v[4:5], v[4:5], s[8:9], v[44:45]
	v_fma_f64 v[6:7], v[6:7], s[8:9], v[48:49]
	;; [unrolled: 1-line block ×9, first 2 shown]
	v_add_f64 v[6:7], v[236:237], -v[244:245]
	v_add_f64 v[44:45], v[20:21], v[24:25]
	v_add_f64 v[38:39], v[18:19], v[22:23]
	;; [unrolled: 1-line block ×5, first 2 shown]
	v_fma_f64 v[24:25], v[16:17], s[2:3], v[36:37]
	v_add_f64 v[46:47], v[12:13], v[22:23]
	v_add_f64 v[18:19], v[44:45], -v[50:51]
	v_add_f64 v[16:17], v[52:53], v[38:39]
	v_add_f64 v[36:37], v[38:39], -v[52:53]
	;; [unrolled: 2-line block ×3, first 2 shown]
	v_add_f64 v[20:21], v[26:27], -v[24:25]
	v_add_f64 v[24:25], v[24:25], v[26:27]
	v_add_f64 v[26:27], v[32:33], -v[2:3]
	v_add_f64 v[30:31], v[0:1], v[48:49]
	v_add_f64 v[38:39], v[50:51], v[44:45]
	;; [unrolled: 1-line block ×7, first 2 shown]
	v_add_f64 v[28:29], v[46:47], -v[4:5]
	v_add_f64 v[4:5], v[234:235], -v[242:243]
	;; [unrolled: 1-line block ×4, first 2 shown]
	v_add_f64 v[50:51], v[222:223], v[230:231]
	v_add_f64 v[52:53], v[224:225], v[232:233]
	;; [unrolled: 1-line block ×4, first 2 shown]
	v_add_f64 v[62:63], v[32:33], -v[0:1]
	v_add_f64 v[64:65], v[44:45], -v[2:3]
	v_add_f64 v[66:67], v[54:55], v[46:47]
	v_add_f64 v[70:71], v[56:57], v[48:49]
	v_add_f64 v[0:1], v[0:1], -v[50:51]
	v_add_f64 v[2:3], v[2:3], -v[52:53]
	;; [unrolled: 1-line block ×10, first 2 shown]
	v_add_f64 v[50:51], v[50:51], v[58:59]
	v_add_f64 v[52:53], v[52:53], v[60:61]
	;; [unrolled: 1-line block ×4, first 2 shown]
	v_mul_f64 v[0:1], v[0:1], s[26:27]
	v_mul_f64 v[2:3], v[2:3], s[26:27]
	;; [unrolled: 1-line block ×8, first 2 shown]
	v_add_f64 v[40:41], v[40:41], v[50:51]
	v_add_f64 v[42:43], v[42:43], v[52:53]
	v_fma_f64 v[32:33], v[32:33], s[6:7], v[0:1]
	v_fma_f64 v[44:45], v[44:45], s[6:7], v[2:3]
	v_fma_f64 v[58:59], v[62:63], s[14:15], -v[58:59]
	v_fma_f64 v[60:61], v[64:65], s[14:15], -v[60:61]
	;; [unrolled: 1-line block ×4, first 2 shown]
	v_fma_f64 v[62:63], v[54:55], s[18:19], v[66:67]
	v_fma_f64 v[64:65], v[56:57], s[18:19], v[70:71]
	v_fma_f64 v[46:47], v[46:47], s[4:5], -v[66:67]
	v_fma_f64 v[48:49], v[48:49], s[4:5], -v[70:71]
	v_fma_f64 v[54:55], v[54:55], s[8:9], v[76:77]
	v_fma_f64 v[56:57], v[56:57], s[8:9], v[78:79]
	v_add_f64 v[78:79], v[34:35], v[206:207]
	v_add_f64 v[34:35], v[206:207], -v[34:35]
	v_fma_f64 v[50:51], v[50:51], s[20:21], v[40:41]
	v_fma_f64 v[52:53], v[52:53], s[20:21], v[42:43]
	;; [unrolled: 1-line block ×8, first 2 shown]
	v_add_f64 v[32:33], v[32:33], v[50:51]
	v_add_f64 v[66:67], v[44:45], v[52:53]
	v_add_f64 v[58:59], v[58:59], v[50:51]
	v_add_f64 v[60:61], v[60:61], v[52:53]
	v_add_f64 v[0:1], v[0:1], v[50:51]
	v_add_f64 v[2:3], v[2:3], v[52:53]
	v_add_f64 v[48:49], v[64:65], v[32:33]
	v_add_f64 v[50:51], v[66:67], -v[70:71]
	v_add_f64 v[52:53], v[58:59], -v[76:77]
	v_add_f64 v[54:55], v[62:63], v[60:61]
	v_add_f64 v[44:45], v[6:7], v[0:1]
	v_add_f64 v[46:47], v[2:3], -v[4:5]
	v_add_f64 v[56:57], v[76:77], v[58:59]
	v_add_f64 v[58:59], v[60:61], -v[62:63]
	v_add_f64 v[60:61], v[0:1], -v[6:7]
	v_add_f64 v[62:63], v[4:5], v[2:3]
	v_add_f64 v[64:65], v[32:33], -v[64:65]
	v_add_f64 v[66:67], v[70:71], v[66:67]
	v_add_f64 v[0:1], v[210:211], v[218:219]
	;; [unrolled: 1-line block ×5, first 2 shown]
	v_add_f64 v[4:5], v[210:211], -v[218:219]
	v_add_f64 v[6:7], v[212:213], -v[220:221]
	;; [unrolled: 1-line block ×4, first 2 shown]
	v_add_f64 v[84:85], v[32:33], v[0:1]
	v_add_f64 v[86:87], v[70:71], v[2:3]
	v_add_f64 v[88:89], v[32:33], -v[0:1]
	v_add_f64 v[90:91], v[70:71], -v[2:3]
	v_add_f64 v[0:1], v[0:1], -v[78:79]
	v_add_f64 v[2:3], v[2:3], -v[80:81]
	v_add_f64 v[32:33], v[78:79], -v[32:33]
	v_add_f64 v[70:71], v[80:81], -v[70:71]
	v_add_f64 v[92:93], v[34:35], v[68:69]
	v_add_f64 v[94:95], v[82:83], v[76:77]
	v_add_f64 v[96:97], v[34:35], -v[68:69]
	v_add_f64 v[98:99], v[82:83], -v[76:77]
	;; [unrolled: 1-line block ×6, first 2 shown]
	v_add_f64 v[78:79], v[78:79], v[84:85]
	v_add_f64 v[80:81], v[80:81], v[86:87]
	v_mul_f64 v[0:1], v[0:1], s[26:27]
	v_mul_f64 v[2:3], v[2:3], s[26:27]
	;; [unrolled: 1-line block ×4, first 2 shown]
	v_add_f64 v[4:5], v[92:93], v[4:5]
	v_add_f64 v[6:7], v[94:95], v[6:7]
	v_mul_f64 v[92:93], v[96:97], s[22:23]
	v_mul_f64 v[94:95], v[98:99], s[22:23]
	;; [unrolled: 1-line block ×4, first 2 shown]
	v_add_f64 v[72:73], v[72:73], v[78:79]
	v_add_f64 v[74:75], v[74:75], v[80:81]
	v_fma_f64 v[32:33], v[32:33], s[6:7], v[0:1]
	v_fma_f64 v[70:71], v[70:71], s[6:7], v[2:3]
	v_fma_f64 v[84:85], v[88:89], s[14:15], -v[84:85]
	v_fma_f64 v[86:87], v[90:91], s[14:15], -v[86:87]
	;; [unrolled: 1-line block ×4, first 2 shown]
	v_fma_f64 v[88:89], v[34:35], s[18:19], v[92:93]
	v_fma_f64 v[90:91], v[82:83], s[18:19], v[94:95]
	v_fma_f64 v[68:69], v[68:69], s[4:5], -v[92:93]
	v_fma_f64 v[76:77], v[76:77], s[4:5], -v[94:95]
	v_fma_f64 v[34:35], v[34:35], s[8:9], v[96:97]
	v_fma_f64 v[82:83], v[82:83], s[8:9], v[98:99]
	;; [unrolled: 1-line block ×10, first 2 shown]
	v_add_f64 v[34:35], v[118:119], v[104:105]
	v_add_f64 v[92:93], v[84:85], v[78:79]
	;; [unrolled: 1-line block ×7, first 2 shown]
	v_add_f64 v[84:85], v[92:93], -v[88:89]
	v_add_f64 v[82:83], v[70:71], -v[98:99]
	v_add_f64 v[86:87], v[68:69], v[94:95]
	v_add_f64 v[76:77], v[6:7], v[0:1]
	v_add_f64 v[78:79], v[2:3], -v[4:5]
	v_add_f64 v[88:89], v[88:89], v[92:93]
	v_add_f64 v[90:91], v[94:95], -v[68:69]
	v_add_f64 v[92:93], v[0:1], -v[6:7]
	v_add_f64 v[94:95], v[4:5], v[2:3]
	v_add_f64 v[98:99], v[98:99], v[70:71]
	;; [unrolled: 1-line block ×3, first 2 shown]
	v_add_f64 v[4:5], v[246:247], -v[106:107]
	v_add_f64 v[6:7], v[122:123], -v[100:101]
	;; [unrolled: 1-line block ×6, first 2 shown]
	v_add_f64 v[80:81], v[96:97], v[32:33]
	v_add_f64 v[96:97], v[32:33], -v[96:97]
	v_add_f64 v[2:3], v[122:123], v[100:101]
	v_add_f64 v[32:33], v[120:121], v[110:111]
	v_add_f64 v[100:101], v[116:117], v[114:115]
	v_add_f64 v[197:198], v[68:69], -v[4:5]
	v_add_f64 v[199:200], v[70:71], -v[6:7]
	v_add_f64 v[116:117], v[104:105], v[68:69]
	v_add_f64 v[118:119], v[106:107], v[70:71]
	v_add_f64 v[120:121], v[104:105], -v[68:69]
	v_add_f64 v[122:123], v[106:107], -v[70:71]
	s_clause 0x3
	buffer_load_dword v68, off, s[36:39], 0 offset:956
	buffer_load_dword v69, off, s[36:39], 0 offset:960
	;; [unrolled: 1-line block ×4, first 2 shown]
	v_add_f64 v[108:109], v[32:33], v[0:1]
	v_add_f64 v[110:111], v[34:35], v[2:3]
	v_add_f64 v[112:113], v[32:33], -v[0:1]
	v_add_f64 v[114:115], v[34:35], -v[2:3]
	;; [unrolled: 1-line block ×8, first 2 shown]
	v_add_f64 v[4:5], v[116:117], v[4:5]
	v_add_f64 v[6:7], v[118:119], v[6:7]
	v_mul_f64 v[116:117], v[120:121], s[22:23]
	v_mul_f64 v[118:119], v[122:123], s[22:23]
	;; [unrolled: 1-line block ×3, first 2 shown]
	v_add_f64 v[100:101], v[100:101], v[108:109]
	v_add_f64 v[102:103], v[102:103], v[110:111]
	v_mul_f64 v[122:123], v[199:200], s[24:25]
	v_mul_f64 v[0:1], v[0:1], s[26:27]
	;; [unrolled: 1-line block ×5, first 2 shown]
	v_fma_f64 v[32:33], v[32:33], s[6:7], v[0:1]
	v_fma_f64 v[34:35], v[34:35], s[6:7], v[2:3]
	v_fma_f64 v[108:109], v[112:113], s[14:15], -v[108:109]
	v_fma_f64 v[110:111], v[114:115], s[14:15], -v[110:111]
	;; [unrolled: 1-line block ×4, first 2 shown]
	v_fma_f64 v[112:113], v[104:105], s[18:19], v[116:117]
	v_fma_f64 v[114:115], v[106:107], s[18:19], v[118:119]
	v_fma_f64 v[116:117], v[197:198], s[4:5], -v[116:117]
	v_fma_f64 v[118:119], v[199:200], s[4:5], -v[118:119]
	v_fma_f64 v[104:105], v[104:105], s[8:9], v[120:121]
	v_fma_f64 v[106:107], v[106:107], s[8:9], v[122:123]
	;; [unrolled: 1-line block ×8, first 2 shown]
	s_waitcnt vmcnt(2)
	v_add_f64 v[68:69], v[68:69], v[100:101]
	s_waitcnt vmcnt(0)
	v_add_f64 v[70:71], v[70:71], v[102:103]
	v_fma_f64 v[100:101], v[100:101], s[20:21], v[68:69]
	v_fma_f64 v[102:103], v[102:103], s[20:21], v[70:71]
	v_add_f64 v[32:33], v[32:33], v[100:101]
	v_add_f64 v[34:35], v[34:35], v[102:103]
	;; [unrolled: 1-line block ×7, first 2 shown]
	v_add_f64 v[106:107], v[34:35], -v[197:198]
	v_add_f64 v[108:109], v[120:121], -v[112:113]
	v_add_f64 v[110:111], v[114:115], v[122:123]
	v_add_f64 v[100:101], v[6:7], v[0:1]
	v_add_f64 v[102:103], v[2:3], -v[4:5]
	v_add_f64 v[112:113], v[112:113], v[120:121]
	v_add_f64 v[114:115], v[122:123], -v[114:115]
	v_add_f64 v[116:117], v[0:1], -v[6:7]
	v_add_f64 v[118:119], v[4:5], v[2:3]
	v_add_f64 v[120:121], v[32:33], -v[199:200]
	v_add_f64 v[122:123], v[197:198], v[34:35]
	v_add_f64 v[0:1], v[136:137], v[144:145]
	;; [unrolled: 1-line block ×3, first 2 shown]
	v_add_f64 v[4:5], v[136:137], -v[144:145]
	v_add_f64 v[6:7], v[138:139], -v[146:147]
	v_add_f64 v[32:33], v[128:129], v[140:141]
	v_add_f64 v[34:35], v[130:131], v[142:143]
	v_add_f64 v[128:129], v[128:129], -v[140:141]
	v_add_f64 v[130:131], v[130:131], -v[142:143]
	v_add_f64 v[136:137], v[124:125], v[132:133]
	v_add_f64 v[138:139], v[126:127], v[134:135]
	;; [unrolled: 4-line block ×3, first 2 shown]
	v_add_f64 v[140:141], v[32:33], -v[0:1]
	v_add_f64 v[142:143], v[34:35], -v[2:3]
	;; [unrolled: 1-line block ×4, first 2 shown]
	v_add_f64 v[32:33], v[124:125], v[128:129]
	v_add_f64 v[34:35], v[126:127], v[130:131]
	v_add_f64 v[197:198], v[124:125], -v[128:129]
	v_add_f64 v[199:200], v[126:127], -v[130:131]
	;; [unrolled: 1-line block ×8, first 2 shown]
	v_add_f64 v[132:133], v[136:137], v[132:133]
	v_add_f64 v[134:135], v[138:139], v[134:135]
	v_mul_f64 v[136:137], v[144:145], s[6:7]
	v_mul_f64 v[138:139], v[146:147], s[6:7]
	v_add_f64 v[4:5], v[32:33], v[4:5]
	v_add_f64 v[6:7], v[34:35], v[6:7]
	s_clause 0x3
	buffer_load_dword v32, off, s[36:39], 0 offset:940
	buffer_load_dword v33, off, s[36:39], 0 offset:944
	;; [unrolled: 1-line block ×4, first 2 shown]
	v_mul_f64 v[197:198], v[197:198], s[22:23]
	v_mul_f64 v[199:200], v[199:200], s[22:23]
	;; [unrolled: 1-line block ×6, first 2 shown]
	v_fma_f64 v[136:137], v[140:141], s[14:15], -v[136:137]
	v_fma_f64 v[138:139], v[142:143], s[14:15], -v[138:139]
	;; [unrolled: 1-line block ×4, first 2 shown]
	v_fma_f64 v[144:145], v[144:145], s[6:7], v[0:1]
	v_fma_f64 v[146:147], v[146:147], s[6:7], v[2:3]
	v_fma_f64 v[0:1], v[140:141], s[16:17], -v[0:1]
	v_fma_f64 v[2:3], v[142:143], s[16:17], -v[2:3]
	v_fma_f64 v[140:141], v[124:125], s[18:19], v[197:198]
	v_fma_f64 v[142:143], v[126:127], s[18:19], v[199:200]
	;; [unrolled: 1-line block ×10, first 2 shown]
	s_waitcnt vmcnt(2)
	v_add_f64 v[32:33], v[32:33], v[132:133]
	s_waitcnt vmcnt(0)
	v_add_f64 v[34:35], v[34:35], v[134:135]
	v_fma_f64 v[132:133], v[132:133], s[20:21], v[32:33]
	v_fma_f64 v[134:135], v[134:135], s[20:21], v[34:35]
	v_add_f64 v[136:137], v[136:137], v[132:133]
	v_add_f64 v[138:139], v[138:139], v[134:135]
	v_add_f64 v[0:1], v[0:1], v[132:133]
	v_add_f64 v[2:3], v[2:3], v[134:135]
	v_add_f64 v[144:145], v[144:145], v[132:133]
	v_add_f64 v[146:147], v[146:147], v[134:135]
	v_add_f64 v[132:133], v[136:137], -v[142:143]
	v_add_f64 v[134:135], v[140:141], v[138:139]
	v_add_f64 v[124:125], v[6:7], v[0:1]
	v_add_f64 v[126:127], v[2:3], -v[4:5]
	v_add_f64 v[136:137], v[142:143], v[136:137]
	v_add_f64 v[138:139], v[138:139], -v[140:141]
	v_add_f64 v[140:141], v[0:1], -v[6:7]
	v_add_f64 v[142:143], v[4:5], v[2:3]
	v_add_f64 v[0:1], v[160:161], v[168:169]
	;; [unrolled: 1-line block ×3, first 2 shown]
	v_add_f64 v[4:5], v[160:161], -v[168:169]
	v_add_f64 v[6:7], v[162:163], -v[170:171]
	v_add_f64 v[160:161], v[152:153], v[164:165]
	v_add_f64 v[162:163], v[154:155], v[166:167]
	v_add_f64 v[152:153], v[152:153], -v[164:165]
	v_add_f64 v[154:155], v[154:155], -v[166:167]
	v_add_f64 v[164:165], v[148:149], v[156:157]
	v_add_f64 v[166:167], v[150:151], v[158:159]
	v_add_f64 v[148:149], v[156:157], -v[148:149]
	v_add_f64 v[150:151], v[158:159], -v[150:151]
	v_add_f64 v[128:129], v[199:200], v[144:145]
	v_add_f64 v[130:131], v[146:147], -v[197:198]
	v_add_f64 v[144:145], v[144:145], -v[199:200]
	v_add_f64 v[146:147], v[197:198], v[146:147]
	v_add_f64 v[156:157], v[160:161], v[0:1]
	;; [unrolled: 1-line block ×3, first 2 shown]
	v_add_f64 v[168:169], v[160:161], -v[0:1]
	v_add_f64 v[170:171], v[162:163], -v[2:3]
	;; [unrolled: 1-line block ×4, first 2 shown]
	v_add_f64 v[197:198], v[148:149], v[152:153]
	v_add_f64 v[199:200], v[150:151], v[154:155]
	v_add_f64 v[160:161], v[164:165], -v[160:161]
	v_add_f64 v[162:163], v[166:167], -v[162:163]
	;; [unrolled: 1-line block ×8, first 2 shown]
	v_add_f64 v[156:157], v[164:165], v[156:157]
	v_add_f64 v[158:159], v[166:167], v[158:159]
	v_mul_f64 v[0:1], v[0:1], s[26:27]
	v_mul_f64 v[2:3], v[2:3], s[26:27]
	v_add_f64 v[164:165], v[197:198], v[4:5]
	v_add_f64 v[166:167], v[199:200], v[6:7]
	s_clause 0x3
	buffer_load_dword v4, off, s[36:39], 0 offset:908
	buffer_load_dword v5, off, s[36:39], 0 offset:912
	;; [unrolled: 1-line block ×4, first 2 shown]
	v_mul_f64 v[197:198], v[160:161], s[6:7]
	v_mul_f64 v[199:200], v[162:163], s[6:7]
	;; [unrolled: 1-line block ×6, first 2 shown]
	v_fma_f64 v[160:161], v[160:161], s[6:7], v[0:1]
	v_fma_f64 v[162:163], v[162:163], s[6:7], v[2:3]
	v_fma_f64 v[0:1], v[168:169], s[16:17], -v[0:1]
	v_fma_f64 v[2:3], v[170:171], s[16:17], -v[2:3]
	;; [unrolled: 1-line block ×4, first 2 shown]
	v_fma_f64 v[168:169], v[148:149], s[18:19], v[201:202]
	v_fma_f64 v[170:171], v[150:151], s[18:19], v[203:204]
	v_fma_f64 v[152:153], v[152:153], s[4:5], -v[201:202]
	v_fma_f64 v[148:149], v[148:149], s[8:9], v[205:206]
	v_fma_f64 v[150:151], v[150:151], s[8:9], v[207:208]
	v_fma_f64 v[154:155], v[154:155], s[4:5], -v[203:204]
	v_fma_f64 v[205:206], v[164:165], s[2:3], v[148:149]
	s_waitcnt vmcnt(2)
	v_add_f64 v[4:5], v[4:5], v[156:157]
	s_waitcnt vmcnt(0)
	v_add_f64 v[6:7], v[6:7], v[158:159]
	v_fma_f64 v[156:157], v[156:157], s[20:21], v[4:5]
	v_fma_f64 v[158:159], v[158:159], s[20:21], v[6:7]
	v_add_f64 v[201:202], v[160:161], v[156:157]
	v_add_f64 v[160:161], v[197:198], v[156:157]
	;; [unrolled: 1-line block ×4, first 2 shown]
	v_fma_f64 v[197:198], v[164:165], s[2:3], v[168:169]
	v_fma_f64 v[168:169], v[166:167], s[2:3], v[170:171]
	;; [unrolled: 1-line block ×4, first 2 shown]
	v_add_f64 v[203:204], v[162:163], v[158:159]
	v_add_f64 v[162:163], v[199:200], v[158:159]
	v_fma_f64 v[199:200], v[166:167], s[2:3], v[154:155]
	v_add_f64 v[150:151], v[2:3], -v[205:206]
	v_add_f64 v[166:167], v[205:206], v[2:3]
	v_add_f64 v[2:3], v[186:187], v[194:195]
	v_add_f64 v[186:187], v[186:187], -v[194:195]
	v_add_f64 v[148:149], v[164:165], v[0:1]
	v_add_f64 v[164:165], v[0:1], -v[164:165]
	;; [unrolled: 2-line block ×3, first 2 shown]
	v_add_f64 v[192:193], v[180:181], v[188:189]
	v_add_f64 v[194:195], v[182:183], v[190:191]
	v_add_f64 v[180:181], v[180:181], -v[188:189]
	v_add_f64 v[182:183], v[182:183], -v[190:191]
	v_add_f64 v[188:189], v[172:173], v[176:177]
	v_add_f64 v[190:191], v[174:175], v[178:179]
	v_add_f64 v[172:173], v[176:177], -v[172:173]
	v_add_f64 v[174:175], v[178:179], -v[174:175]
	v_add_f64 v[152:153], v[168:169], v[201:202]
	v_add_f64 v[154:155], v[203:204], -v[197:198]
	v_add_f64 v[156:157], v[160:161], -v[199:200]
	v_add_f64 v[158:159], v[170:171], v[162:163]
	v_add_f64 v[160:161], v[199:200], v[160:161]
	v_add_f64 v[162:163], v[162:163], -v[170:171]
	v_add_f64 v[168:169], v[201:202], -v[168:169]
	v_add_f64 v[170:171], v[197:198], v[203:204]
	v_add_f64 v[176:177], v[192:193], v[0:1]
	;; [unrolled: 1-line block ×3, first 2 shown]
	v_add_f64 v[197:198], v[192:193], -v[0:1]
	v_add_f64 v[199:200], v[194:195], -v[2:3]
	;; [unrolled: 1-line block ×4, first 2 shown]
	v_add_f64 v[0:1], v[172:173], v[180:181]
	v_add_f64 v[2:3], v[174:175], v[182:183]
	v_add_f64 v[205:206], v[172:173], -v[180:181]
	v_add_f64 v[207:208], v[174:175], -v[182:183]
	;; [unrolled: 1-line block ×8, first 2 shown]
	v_add_f64 v[176:177], v[188:189], v[176:177]
	v_add_f64 v[178:179], v[190:191], v[178:179]
	v_mul_f64 v[188:189], v[201:202], s[26:27]
	v_mul_f64 v[190:191], v[203:204], s[26:27]
	v_add_f64 v[184:185], v[0:1], v[184:185]
	v_add_f64 v[186:187], v[2:3], v[186:187]
	s_clause 0x3
	buffer_load_dword v0, off, s[36:39], 0 offset:796
	buffer_load_dword v1, off, s[36:39], 0 offset:800
	;; [unrolled: 1-line block ×4, first 2 shown]
	v_mul_f64 v[205:206], v[205:206], s[22:23]
	v_mul_f64 v[207:208], v[207:208], s[22:23]
	;; [unrolled: 1-line block ×6, first 2 shown]
	v_fma_f64 v[192:193], v[192:193], s[6:7], v[188:189]
	v_fma_f64 v[194:195], v[194:195], s[6:7], v[190:191]
	v_fma_f64 v[188:189], v[197:198], s[16:17], -v[188:189]
	v_fma_f64 v[190:191], v[199:200], s[16:17], -v[190:191]
	s_mul_hi_u32 s6, s0, 0xffff8270
	v_fma_f64 v[180:181], v[180:181], s[4:5], -v[205:206]
	v_fma_f64 v[182:183], v[182:183], s[4:5], -v[207:208]
	s_mul_i32 s4, s1, 0x1570
	s_mul_hi_u32 s5, s0, 0x1570
	s_sub_i32 s6, s6, s0
	v_fma_f64 v[201:202], v[197:198], s[14:15], -v[201:202]
	v_fma_f64 v[203:204], v[199:200], s[14:15], -v[203:204]
	v_fma_f64 v[197:198], v[172:173], s[18:19], v[205:206]
	v_fma_f64 v[199:200], v[174:175], s[18:19], v[207:208]
	;; [unrolled: 1-line block ×4, first 2 shown]
	s_add_i32 s4, s5, s4
	s_mul_i32 s5, s0, 0x1570
	v_fma_f64 v[205:206], v[184:185], s[2:3], v[180:181]
	v_fma_f64 v[207:208], v[186:187], s[2:3], v[182:183]
	;; [unrolled: 1-line block ×6, first 2 shown]
	s_mov_b32 s2, 0x5cf97efd
	s_mov_b32 s3, 0x3f3b4b98
	s_waitcnt vmcnt(2)
	v_add_f64 v[0:1], v[0:1], v[176:177]
	s_waitcnt vmcnt(0)
	v_add_f64 v[2:3], v[2:3], v[178:179]
	v_fma_f64 v[176:177], v[176:177], s[20:21], v[0:1]
	v_fma_f64 v[178:179], v[178:179], s[20:21], v[2:3]
	v_add_f64 v[192:193], v[192:193], v[176:177]
	v_add_f64 v[194:195], v[194:195], v[178:179]
	;; [unrolled: 1-line block ×7, first 2 shown]
	v_add_f64 v[174:175], v[194:195], -v[197:198]
	v_add_f64 v[180:181], v[201:202], -v[207:208]
	v_add_f64 v[182:183], v[205:206], v[203:204]
	v_add_f64 v[176:177], v[211:212], v[188:189]
	v_add_f64 v[178:179], v[190:191], -v[209:210]
	v_add_f64 v[184:185], v[207:208], v[201:202]
	v_add_f64 v[186:187], v[203:204], -v[205:206]
	v_add_f64 v[188:189], v[188:189], -v[211:212]
	v_add_f64 v[190:191], v[209:210], v[190:191]
	v_add_f64 v[192:193], v[192:193], -v[199:200]
	v_add_f64 v[194:195], v[197:198], v[194:195]
	ds_write_b128 v196, v[8:11]
	ds_write_b128 v196, v[16:19] offset:5488
	ds_write_b128 v196, v[12:15] offset:10976
	ds_write_b128 v196, v[20:23] offset:16464
	ds_write_b128 v196, v[24:27] offset:21952
	ds_write_b128 v196, v[28:31] offset:27440
	ds_write_b128 v196, v[36:39] offset:32928
	ds_write_b128 v196, v[40:43] offset:784
	ds_write_b128 v196, v[48:51] offset:6272
	ds_write_b128 v196, v[44:47] offset:11760
	ds_write_b128 v196, v[52:55] offset:17248
	ds_write_b128 v196, v[56:59] offset:22736
	ds_write_b128 v196, v[60:63] offset:28224
	ds_write_b128 v196, v[64:67] offset:33712
	ds_write_b128 v196, v[72:75] offset:1568
	ds_write_b128 v196, v[80:83] offset:7056
	ds_write_b128 v196, v[76:79] offset:12544
	ds_write_b128 v196, v[84:87] offset:18032
	ds_write_b128 v196, v[88:91] offset:23520
	ds_write_b128 v196, v[92:95] offset:29008
	ds_write_b128 v196, v[96:99] offset:34496
	ds_write_b128 v196, v[68:71] offset:2352
	ds_write_b128 v196, v[104:107] offset:7840
	ds_write_b128 v196, v[100:103] offset:13328
	ds_write_b128 v196, v[108:111] offset:18816
	ds_write_b128 v196, v[112:115] offset:24304
	ds_write_b128 v196, v[116:119] offset:29792
	ds_write_b128 v196, v[120:123] offset:35280
	ds_write_b128 v196, v[32:35] offset:3136
	ds_write_b128 v196, v[128:131] offset:8624
	ds_write_b128 v196, v[124:127] offset:14112
	ds_write_b128 v196, v[132:135] offset:19600
	ds_write_b128 v196, v[136:139] offset:25088
	ds_write_b128 v196, v[140:143] offset:30576
	ds_write_b128 v196, v[144:147] offset:36064
	ds_write_b128 v196, v[4:7] offset:3920
	ds_write_b128 v196, v[152:155] offset:9408
	ds_write_b128 v196, v[148:151] offset:14896
	ds_write_b128 v196, v[156:159] offset:20384
	ds_write_b128 v196, v[160:163] offset:25872
	ds_write_b128 v196, v[164:167] offset:31360
	ds_write_b128 v196, v[168:171] offset:36848
	ds_write_b128 v196, v[0:3] offset:4704
	ds_write_b128 v196, v[172:175] offset:10192
	ds_write_b128 v196, v[176:179] offset:15680
	ds_write_b128 v196, v[180:183] offset:21168
	ds_write_b128 v196, v[184:187] offset:26656
	ds_write_b128 v196, v[188:191] offset:32144
	ds_write_b128 v196, v[192:195] offset:37632
	s_waitcnt lgkmcnt(0)
	s_waitcnt_vscnt null, 0x0
	s_barrier
	buffer_gl0_inv
	ds_read_b128 v[0:3], v196
	s_clause 0x3
	buffer_load_dword v6, off, s[36:39], 0 offset:124
	buffer_load_dword v7, off, s[36:39], 0 offset:128
	;; [unrolled: 1-line block ×4, first 2 shown]
	s_waitcnt vmcnt(0) lgkmcnt(0)
	v_mul_f64 v[4:5], v[8:9], v[2:3]
	v_fma_f64 v[4:5], v[6:7], v[0:1], v[4:5]
	v_mul_f64 v[0:1], v[8:9], v[0:1]
	v_mul_f64 v[4:5], v[4:5], s[2:3]
	v_fma_f64 v[0:1], v[6:7], v[2:3], -v[0:1]
	buffer_load_dword v2, off, s[36:39], 0  ; 4-byte Folded Reload
	v_mul_f64 v[6:7], v[0:1], s[2:3]
	s_waitcnt vmcnt(0)
	v_mad_u64_u32 v[0:1], null, s0, v2, 0
	s_mulk_i32 s0, 0x8270
	v_mad_u64_u32 v[1:2], null, s1, v2, v[1:2]
	s_clause 0x1
	buffer_load_dword v2, off, s[36:39], 0 offset:20
	buffer_load_dword v3, off, s[36:39], 0 offset:24
	s_mulk_i32 s1, 0x8270
	s_add_i32 s1, s6, s1
	v_lshlrev_b64 v[0:1], 4, v[0:1]
	s_waitcnt vmcnt(0)
	v_lshlrev_b64 v[2:3], 4, v[2:3]
	v_add_co_u32 v2, vcc_lo, s12, v2
	v_add_co_ci_u32_e32 v3, vcc_lo, s13, v3, vcc_lo
	v_add_co_u32 v8, vcc_lo, v2, v0
	v_add_co_ci_u32_e32 v9, vcc_lo, v3, v1, vcc_lo
	ds_read_b128 v[0:3], v196 offset:5488
	global_store_dwordx4 v[8:9], v[4:7], off
	s_clause 0x3
	buffer_load_dword v10, off, s[36:39], 0 offset:76
	buffer_load_dword v11, off, s[36:39], 0 offset:80
	buffer_load_dword v12, off, s[36:39], 0 offset:84
	buffer_load_dword v13, off, s[36:39], 0 offset:88
	v_add_co_u32 v8, vcc_lo, v8, s5
	v_add_co_ci_u32_e32 v9, vcc_lo, s4, v9, vcc_lo
	s_waitcnt vmcnt(0) lgkmcnt(0)
	v_mul_f64 v[4:5], v[12:13], v[2:3]
	v_fma_f64 v[4:5], v[10:11], v[0:1], v[4:5]
	v_mul_f64 v[0:1], v[12:13], v[0:1]
	v_mul_f64 v[4:5], v[4:5], s[2:3]
	v_fma_f64 v[0:1], v[10:11], v[2:3], -v[0:1]
	v_mul_f64 v[6:7], v[0:1], s[2:3]
	ds_read_b128 v[0:3], v196 offset:10976
	global_store_dwordx4 v[8:9], v[4:7], off
	s_clause 0x3
	buffer_load_dword v10, off, s[36:39], 0 offset:28
	buffer_load_dword v11, off, s[36:39], 0 offset:32
	buffer_load_dword v12, off, s[36:39], 0 offset:36
	buffer_load_dword v13, off, s[36:39], 0 offset:40
	v_add_co_u32 v8, vcc_lo, v8, s5
	v_add_co_ci_u32_e32 v9, vcc_lo, s4, v9, vcc_lo
	s_waitcnt vmcnt(0) lgkmcnt(0)
	v_mul_f64 v[4:5], v[12:13], v[2:3]
	v_fma_f64 v[4:5], v[10:11], v[0:1], v[4:5]
	v_mul_f64 v[0:1], v[12:13], v[0:1]
	v_mul_f64 v[4:5], v[4:5], s[2:3]
	v_fma_f64 v[0:1], v[10:11], v[2:3], -v[0:1]
	v_mul_f64 v[6:7], v[0:1], s[2:3]
	;; [unrolled: 16-line block ×45, first 2 shown]
	ds_read_b128 v[0:3], v196 offset:26656
	global_store_dwordx4 v[8:9], v[4:7], off
	s_clause 0x3
	buffer_load_dword v10, off, s[36:39], 0 offset:764
	buffer_load_dword v11, off, s[36:39], 0 offset:768
	;; [unrolled: 1-line block ×4, first 2 shown]
	s_waitcnt vmcnt(0) lgkmcnt(0)
	v_mul_f64 v[4:5], v[12:13], v[2:3]
	v_fma_f64 v[4:5], v[10:11], v[0:1], v[4:5]
	v_mul_f64 v[0:1], v[12:13], v[0:1]
	v_mul_f64 v[4:5], v[4:5], s[2:3]
	v_fma_f64 v[0:1], v[10:11], v[2:3], -v[0:1]
	v_add_co_u32 v10, vcc_lo, v8, s5
	v_add_co_ci_u32_e32 v11, vcc_lo, s4, v9, vcc_lo
	v_mul_f64 v[6:7], v[0:1], s[2:3]
	ds_read_b128 v[0:3], v196 offset:32144
	global_store_dwordx4 v[10:11], v[4:7], off
	s_clause 0x3
	buffer_load_dword v12, off, s[36:39], 0 offset:780
	buffer_load_dword v13, off, s[36:39], 0 offset:784
	;; [unrolled: 1-line block ×4, first 2 shown]
	s_waitcnt vmcnt(0) lgkmcnt(0)
	v_mul_f64 v[4:5], v[14:15], v[2:3]
	v_fma_f64 v[4:5], v[12:13], v[0:1], v[4:5]
	v_mul_f64 v[0:1], v[14:15], v[0:1]
	v_mul_f64 v[6:7], v[4:5], s[2:3]
	v_fma_f64 v[0:1], v[12:13], v[2:3], -v[0:1]
	v_add_co_u32 v4, vcc_lo, v10, s5
	v_add_co_ci_u32_e32 v5, vcc_lo, s4, v11, vcc_lo
	v_mul_f64 v[8:9], v[0:1], s[2:3]
	ds_read_b128 v[0:3], v196 offset:37632
	global_store_dwordx4 v[4:5], v[6:9], off
	s_clause 0x3
	buffer_load_dword v8, off, s[36:39], 0 offset:4
	buffer_load_dword v9, off, s[36:39], 0 offset:8
	;; [unrolled: 1-line block ×4, first 2 shown]
	s_waitcnt vmcnt(0) lgkmcnt(0)
	v_mul_f64 v[6:7], v[10:11], v[2:3]
	v_fma_f64 v[6:7], v[8:9], v[0:1], v[6:7]
	v_mul_f64 v[0:1], v[10:11], v[0:1]
	v_mul_f64 v[6:7], v[6:7], s[2:3]
	v_fma_f64 v[0:1], v[8:9], v[2:3], -v[0:1]
	v_mul_f64 v[8:9], v[0:1], s[2:3]
	v_add_co_u32 v0, vcc_lo, v4, s5
	v_add_co_ci_u32_e32 v1, vcc_lo, s4, v5, vcc_lo
	global_store_dwordx4 v[0:1], v[6:9], off
.LBB0_2:
	s_endpgm
	.section	.rodata,"a",@progbits
	.p2align	6, 0x0
	.amdhsa_kernel bluestein_single_back_len2401_dim1_dp_op_CI_CI
		.amdhsa_group_segment_fixed_size 38416
		.amdhsa_private_segment_fixed_size 2912
		.amdhsa_kernarg_size 104
		.amdhsa_user_sgpr_count 6
		.amdhsa_user_sgpr_private_segment_buffer 1
		.amdhsa_user_sgpr_dispatch_ptr 0
		.amdhsa_user_sgpr_queue_ptr 0
		.amdhsa_user_sgpr_kernarg_segment_ptr 1
		.amdhsa_user_sgpr_dispatch_id 0
		.amdhsa_user_sgpr_flat_scratch_init 0
		.amdhsa_user_sgpr_private_segment_size 0
		.amdhsa_wavefront_size32 1
		.amdhsa_uses_dynamic_stack 0
		.amdhsa_system_sgpr_private_segment_wavefront_offset 1
		.amdhsa_system_sgpr_workgroup_id_x 1
		.amdhsa_system_sgpr_workgroup_id_y 0
		.amdhsa_system_sgpr_workgroup_id_z 0
		.amdhsa_system_sgpr_workgroup_info 0
		.amdhsa_system_vgpr_workitem_id 0
		.amdhsa_next_free_vgpr 256
		.amdhsa_next_free_sgpr 40
		.amdhsa_reserve_vcc 1
		.amdhsa_reserve_flat_scratch 0
		.amdhsa_float_round_mode_32 0
		.amdhsa_float_round_mode_16_64 0
		.amdhsa_float_denorm_mode_32 3
		.amdhsa_float_denorm_mode_16_64 3
		.amdhsa_dx10_clamp 1
		.amdhsa_ieee_mode 1
		.amdhsa_fp16_overflow 0
		.amdhsa_workgroup_processor_mode 1
		.amdhsa_memory_ordered 1
		.amdhsa_forward_progress 0
		.amdhsa_shared_vgpr_count 0
		.amdhsa_exception_fp_ieee_invalid_op 0
		.amdhsa_exception_fp_denorm_src 0
		.amdhsa_exception_fp_ieee_div_zero 0
		.amdhsa_exception_fp_ieee_overflow 0
		.amdhsa_exception_fp_ieee_underflow 0
		.amdhsa_exception_fp_ieee_inexact 0
		.amdhsa_exception_int_div_zero 0
	.end_amdhsa_kernel
	.text
.Lfunc_end0:
	.size	bluestein_single_back_len2401_dim1_dp_op_CI_CI, .Lfunc_end0-bluestein_single_back_len2401_dim1_dp_op_CI_CI
                                        ; -- End function
	.section	.AMDGPU.csdata,"",@progbits
; Kernel info:
; codeLenInByte = 80216
; NumSgprs: 42
; NumVgprs: 256
; ScratchSize: 2912
; MemoryBound: 0
; FloatMode: 240
; IeeeMode: 1
; LDSByteSize: 38416 bytes/workgroup (compile time only)
; SGPRBlocks: 5
; VGPRBlocks: 31
; NumSGPRsForWavesPerEU: 42
; NumVGPRsForWavesPerEU: 256
; Occupancy: 2
; WaveLimiterHint : 1
; COMPUTE_PGM_RSRC2:SCRATCH_EN: 1
; COMPUTE_PGM_RSRC2:USER_SGPR: 6
; COMPUTE_PGM_RSRC2:TRAP_HANDLER: 0
; COMPUTE_PGM_RSRC2:TGID_X_EN: 1
; COMPUTE_PGM_RSRC2:TGID_Y_EN: 0
; COMPUTE_PGM_RSRC2:TGID_Z_EN: 0
; COMPUTE_PGM_RSRC2:TIDIG_COMP_CNT: 0
	.text
	.p2alignl 6, 3214868480
	.fill 48, 4, 3214868480
	.type	__hip_cuid_3239231795e16823,@object ; @__hip_cuid_3239231795e16823
	.section	.bss,"aw",@nobits
	.globl	__hip_cuid_3239231795e16823
__hip_cuid_3239231795e16823:
	.byte	0                               ; 0x0
	.size	__hip_cuid_3239231795e16823, 1

	.ident	"AMD clang version 19.0.0git (https://github.com/RadeonOpenCompute/llvm-project roc-6.4.0 25133 c7fe45cf4b819c5991fe208aaa96edf142730f1d)"
	.section	".note.GNU-stack","",@progbits
	.addrsig
	.addrsig_sym __hip_cuid_3239231795e16823
	.amdgpu_metadata
---
amdhsa.kernels:
  - .args:
      - .actual_access:  read_only
        .address_space:  global
        .offset:         0
        .size:           8
        .value_kind:     global_buffer
      - .actual_access:  read_only
        .address_space:  global
        .offset:         8
        .size:           8
        .value_kind:     global_buffer
      - .actual_access:  read_only
        .address_space:  global
        .offset:         16
        .size:           8
        .value_kind:     global_buffer
      - .actual_access:  read_only
        .address_space:  global
        .offset:         24
        .size:           8
        .value_kind:     global_buffer
      - .actual_access:  read_only
        .address_space:  global
        .offset:         32
        .size:           8
        .value_kind:     global_buffer
      - .offset:         40
        .size:           8
        .value_kind:     by_value
      - .address_space:  global
        .offset:         48
        .size:           8
        .value_kind:     global_buffer
      - .address_space:  global
        .offset:         56
        .size:           8
        .value_kind:     global_buffer
      - .address_space:  global
        .offset:         64
        .size:           8
        .value_kind:     global_buffer
      - .address_space:  global
        .offset:         72
        .size:           8
        .value_kind:     global_buffer
      - .offset:         80
        .size:           4
        .value_kind:     by_value
      - .address_space:  global
        .offset:         88
        .size:           8
        .value_kind:     global_buffer
      - .address_space:  global
        .offset:         96
        .size:           8
        .value_kind:     global_buffer
    .group_segment_fixed_size: 38416
    .kernarg_segment_align: 8
    .kernarg_segment_size: 104
    .language:       OpenCL C
    .language_version:
      - 2
      - 0
    .max_flat_workgroup_size: 49
    .name:           bluestein_single_back_len2401_dim1_dp_op_CI_CI
    .private_segment_fixed_size: 2912
    .sgpr_count:     42
    .sgpr_spill_count: 0
    .symbol:         bluestein_single_back_len2401_dim1_dp_op_CI_CI.kd
    .uniform_work_group_size: 1
    .uses_dynamic_stack: false
    .vgpr_count:     256
    .vgpr_spill_count: 815
    .wavefront_size: 32
    .workgroup_processor_mode: 1
amdhsa.target:   amdgcn-amd-amdhsa--gfx1030
amdhsa.version:
  - 1
  - 2
...

	.end_amdgpu_metadata
